;; amdgpu-corpus repo=ROCm/rocFFT kind=compiled arch=gfx950 opt=O3
	.text
	.amdgcn_target "amdgcn-amd-amdhsa--gfx950"
	.amdhsa_code_object_version 6
	.protected	fft_rtc_fwd_len4096_factors_16_16_16_wgs_256_tpt_256_halfLds_sp_ip_CI_unitstride_sbrr_R2C_dirReg ; -- Begin function fft_rtc_fwd_len4096_factors_16_16_16_wgs_256_tpt_256_halfLds_sp_ip_CI_unitstride_sbrr_R2C_dirReg
	.globl	fft_rtc_fwd_len4096_factors_16_16_16_wgs_256_tpt_256_halfLds_sp_ip_CI_unitstride_sbrr_R2C_dirReg
	.p2align	8
	.type	fft_rtc_fwd_len4096_factors_16_16_16_wgs_256_tpt_256_halfLds_sp_ip_CI_unitstride_sbrr_R2C_dirReg,@function
fft_rtc_fwd_len4096_factors_16_16_16_wgs_256_tpt_256_halfLds_sp_ip_CI_unitstride_sbrr_R2C_dirReg: ; @fft_rtc_fwd_len4096_factors_16_16_16_wgs_256_tpt_256_halfLds_sp_ip_CI_unitstride_sbrr_R2C_dirReg
; %bb.0:
	s_load_dwordx2 s[8:9], s[0:1], 0x50
	s_load_dwordx4 s[4:7], s[0:1], 0x0
	s_load_dwordx2 s[10:11], s[0:1], 0x18
	v_mov_b32_e32 v6, s2
	v_mov_b32_e32 v4, 0
	v_mov_b32_e32 v7, v4
	s_waitcnt lgkmcnt(0)
	v_cmp_lt_u64_e64 s[2:3], s[6:7], 2
	s_and_b64 vcc, exec, s[2:3]
	v_mov_b64_e32 v[2:3], 0
	s_cbranch_vccnz .LBB0_8
; %bb.1:
	s_load_dwordx2 s[2:3], s[0:1], 0x10
	s_add_u32 s12, s10, 8
	s_addc_u32 s13, s11, 0
	s_mov_b64 s[14:15], 1
	v_mov_b64_e32 v[2:3], 0
	s_waitcnt lgkmcnt(0)
	s_add_u32 s16, s2, 8
	s_addc_u32 s17, s3, 0
.LBB0_2:                                ; =>This Inner Loop Header: Depth=1
	s_load_dwordx2 s[18:19], s[16:17], 0x0
                                        ; implicit-def: $vgpr8_vgpr9
	s_waitcnt lgkmcnt(0)
	v_or_b32_e32 v5, s19, v7
	v_cmp_ne_u64_e32 vcc, 0, v[4:5]
	s_and_saveexec_b64 s[2:3], vcc
	s_xor_b64 s[20:21], exec, s[2:3]
	s_cbranch_execz .LBB0_4
; %bb.3:                                ;   in Loop: Header=BB0_2 Depth=1
	v_cvt_f32_u32_e32 v1, s18
	v_cvt_f32_u32_e32 v5, s19
	s_sub_u32 s2, 0, s18
	s_subb_u32 s3, 0, s19
	v_fmac_f32_e32 v1, 0x4f800000, v5
	v_rcp_f32_e32 v1, v1
	s_nop 0
	v_mul_f32_e32 v1, 0x5f7ffffc, v1
	v_mul_f32_e32 v5, 0x2f800000, v1
	v_trunc_f32_e32 v5, v5
	v_fmac_f32_e32 v1, 0xcf800000, v5
	v_cvt_u32_f32_e32 v5, v5
	v_cvt_u32_f32_e32 v1, v1
	v_mul_lo_u32 v8, s2, v5
	v_mul_hi_u32 v10, s2, v1
	v_mul_lo_u32 v9, s3, v1
	v_add_u32_e32 v10, v10, v8
	v_mul_lo_u32 v12, s2, v1
	v_add_u32_e32 v13, v10, v9
	v_mul_hi_u32 v8, v1, v12
	v_mul_hi_u32 v11, v1, v13
	v_mul_lo_u32 v10, v1, v13
	v_mov_b32_e32 v9, v4
	v_lshl_add_u64 v[8:9], v[8:9], 0, v[10:11]
	v_mul_hi_u32 v11, v5, v12
	v_mul_lo_u32 v12, v5, v12
	v_add_co_u32_e32 v8, vcc, v8, v12
	v_mul_hi_u32 v10, v5, v13
	s_nop 0
	v_addc_co_u32_e32 v8, vcc, v9, v11, vcc
	v_mov_b32_e32 v9, v4
	s_nop 0
	v_addc_co_u32_e32 v11, vcc, 0, v10, vcc
	v_mul_lo_u32 v10, v5, v13
	v_lshl_add_u64 v[8:9], v[8:9], 0, v[10:11]
	v_add_co_u32_e32 v1, vcc, v1, v8
	v_mul_lo_u32 v10, s2, v1
	s_nop 0
	v_addc_co_u32_e32 v5, vcc, v5, v9, vcc
	v_mul_lo_u32 v8, s2, v5
	v_mul_hi_u32 v9, s2, v1
	v_add_u32_e32 v8, v9, v8
	v_mul_lo_u32 v9, s3, v1
	v_add_u32_e32 v12, v8, v9
	v_mul_hi_u32 v14, v5, v10
	v_mul_lo_u32 v15, v5, v10
	v_mul_hi_u32 v9, v1, v12
	v_mul_lo_u32 v8, v1, v12
	v_mul_hi_u32 v10, v1, v10
	v_mov_b32_e32 v11, v4
	v_lshl_add_u64 v[8:9], v[10:11], 0, v[8:9]
	v_add_co_u32_e32 v8, vcc, v8, v15
	v_mul_hi_u32 v13, v5, v12
	s_nop 0
	v_addc_co_u32_e32 v8, vcc, v9, v14, vcc
	v_mul_lo_u32 v10, v5, v12
	s_nop 0
	v_addc_co_u32_e32 v11, vcc, 0, v13, vcc
	v_mov_b32_e32 v9, v4
	v_lshl_add_u64 v[8:9], v[8:9], 0, v[10:11]
	v_add_co_u32_e32 v1, vcc, v1, v8
	v_mul_hi_u32 v10, v6, v1
	s_nop 0
	v_addc_co_u32_e32 v5, vcc, v5, v9, vcc
	v_mad_u64_u32 v[8:9], s[2:3], v6, v5, 0
	v_mov_b32_e32 v11, v4
	v_lshl_add_u64 v[8:9], v[10:11], 0, v[8:9]
	v_mad_u64_u32 v[12:13], s[2:3], v7, v1, 0
	v_add_co_u32_e32 v1, vcc, v8, v12
	v_mad_u64_u32 v[10:11], s[2:3], v7, v5, 0
	s_nop 0
	v_addc_co_u32_e32 v8, vcc, v9, v13, vcc
	v_mov_b32_e32 v9, v4
	s_nop 0
	v_addc_co_u32_e32 v11, vcc, 0, v11, vcc
	v_lshl_add_u64 v[8:9], v[8:9], 0, v[10:11]
	v_mul_lo_u32 v1, s19, v8
	v_mul_lo_u32 v5, s18, v9
	v_mad_u64_u32 v[10:11], s[2:3], s18, v8, 0
	v_add3_u32 v1, v11, v5, v1
	v_sub_u32_e32 v5, v7, v1
	v_mov_b32_e32 v11, s19
	v_sub_co_u32_e32 v14, vcc, v6, v10
	v_lshl_add_u64 v[12:13], v[8:9], 0, 1
	s_nop 0
	v_subb_co_u32_e64 v5, s[2:3], v5, v11, vcc
	v_subrev_co_u32_e64 v10, s[2:3], s18, v14
	v_subb_co_u32_e32 v1, vcc, v7, v1, vcc
	s_nop 0
	v_subbrev_co_u32_e64 v5, s[2:3], 0, v5, s[2:3]
	v_cmp_le_u32_e64 s[2:3], s19, v5
	v_cmp_le_u32_e32 vcc, s19, v1
	s_nop 0
	v_cndmask_b32_e64 v11, 0, -1, s[2:3]
	v_cmp_le_u32_e64 s[2:3], s18, v10
	s_nop 1
	v_cndmask_b32_e64 v10, 0, -1, s[2:3]
	v_cmp_eq_u32_e64 s[2:3], s19, v5
	s_nop 1
	v_cndmask_b32_e64 v5, v11, v10, s[2:3]
	v_lshl_add_u64 v[10:11], v[8:9], 0, 2
	v_cmp_ne_u32_e64 s[2:3], 0, v5
	s_nop 1
	v_cndmask_b32_e64 v5, v13, v11, s[2:3]
	v_cndmask_b32_e64 v11, 0, -1, vcc
	v_cmp_le_u32_e32 vcc, s18, v14
	s_nop 1
	v_cndmask_b32_e64 v13, 0, -1, vcc
	v_cmp_eq_u32_e32 vcc, s19, v1
	s_nop 1
	v_cndmask_b32_e32 v1, v11, v13, vcc
	v_cmp_ne_u32_e32 vcc, 0, v1
	v_cndmask_b32_e64 v1, v12, v10, s[2:3]
	s_nop 0
	v_cndmask_b32_e32 v9, v9, v5, vcc
	v_cndmask_b32_e32 v8, v8, v1, vcc
.LBB0_4:                                ;   in Loop: Header=BB0_2 Depth=1
	s_andn2_saveexec_b64 s[2:3], s[20:21]
	s_cbranch_execz .LBB0_6
; %bb.5:                                ;   in Loop: Header=BB0_2 Depth=1
	v_cvt_f32_u32_e32 v1, s18
	s_sub_i32 s20, 0, s18
	v_rcp_iflag_f32_e32 v1, v1
	s_nop 0
	v_mul_f32_e32 v1, 0x4f7ffffe, v1
	v_cvt_u32_f32_e32 v1, v1
	v_mul_lo_u32 v5, s20, v1
	v_mul_hi_u32 v5, v1, v5
	v_add_u32_e32 v1, v1, v5
	v_mul_hi_u32 v1, v6, v1
	v_mul_lo_u32 v5, v1, s18
	v_sub_u32_e32 v5, v6, v5
	v_add_u32_e32 v8, 1, v1
	v_subrev_u32_e32 v9, s18, v5
	v_cmp_le_u32_e32 vcc, s18, v5
	s_nop 1
	v_cndmask_b32_e32 v5, v5, v9, vcc
	v_cndmask_b32_e32 v1, v1, v8, vcc
	v_add_u32_e32 v8, 1, v1
	v_cmp_le_u32_e32 vcc, s18, v5
	v_mov_b32_e32 v9, v4
	s_nop 0
	v_cndmask_b32_e32 v8, v1, v8, vcc
.LBB0_6:                                ;   in Loop: Header=BB0_2 Depth=1
	s_or_b64 exec, exec, s[2:3]
	v_mad_u64_u32 v[10:11], s[2:3], v8, s18, 0
	s_load_dwordx2 s[2:3], s[12:13], 0x0
	v_mul_lo_u32 v1, v9, s18
	v_mul_lo_u32 v5, v8, s19
	v_add3_u32 v1, v11, v5, v1
	v_sub_co_u32_e32 v5, vcc, v6, v10
	s_add_u32 s14, s14, 1
	s_nop 0
	v_subb_co_u32_e32 v1, vcc, v7, v1, vcc
	s_addc_u32 s15, s15, 0
	s_waitcnt lgkmcnt(0)
	v_mul_lo_u32 v1, s2, v1
	v_mul_lo_u32 v6, s3, v5
	v_mad_u64_u32 v[2:3], s[2:3], s2, v5, v[2:3]
	s_add_u32 s12, s12, 8
	v_add3_u32 v3, v6, v3, v1
	s_addc_u32 s13, s13, 0
	v_mov_b64_e32 v[6:7], s[6:7]
	s_add_u32 s16, s16, 8
	v_cmp_ge_u64_e32 vcc, s[14:15], v[6:7]
	s_addc_u32 s17, s17, 0
	s_cbranch_vccnz .LBB0_9
; %bb.7:                                ;   in Loop: Header=BB0_2 Depth=1
	v_mov_b64_e32 v[6:7], v[8:9]
	s_branch .LBB0_2
.LBB0_8:
	v_mov_b64_e32 v[8:9], v[6:7]
.LBB0_9:
	s_lshl_b64 s[2:3], s[6:7], 3
	s_add_u32 s2, s10, s2
	s_addc_u32 s3, s11, s3
	s_load_dwordx2 s[6:7], s[2:3], 0x0
	s_load_dwordx2 s[10:11], s[0:1], 0x20
                                        ; implicit-def: $vgpr6
                                        ; implicit-def: $vgpr18
                                        ; implicit-def: $vgpr16
                                        ; implicit-def: $vgpr14
                                        ; implicit-def: $vgpr12
                                        ; implicit-def: $vgpr10
                                        ; implicit-def: $vgpr7
                                        ; implicit-def: $vgpr11
                                        ; implicit-def: $vgpr13
                                        ; implicit-def: $vgpr15
                                        ; implicit-def: $vgpr17
                                        ; implicit-def: $vgpr19
                                        ; implicit-def: $vgpr20
	s_waitcnt lgkmcnt(0)
	v_mul_lo_u32 v1, s6, v9
	v_mul_lo_u32 v4, s7, v8
	v_mad_u64_u32 v[2:3], s[0:1], s6, v8, v[2:3]
	v_add3_u32 v3, v4, v3, v1
	v_cmp_gt_u64_e32 vcc, s[10:11], v[8:9]
	v_cmp_le_u64_e64 s[0:1], s[10:11], v[8:9]
                                        ; implicit-def: $vgpr8
                                        ; implicit-def: $vgpr9
	s_and_saveexec_b64 s[2:3], s[0:1]
	s_xor_b64 s[0:1], exec, s[2:3]
	s_cbranch_execz .LBB0_11
; %bb.10:
	v_or_b32_e32 v6, 0x100, v0
	v_or_b32_e32 v18, 0x200, v0
	;; [unrolled: 1-line block ×15, first 2 shown]
.LBB0_11:
	s_or_saveexec_b64 s[0:1], s[0:1]
	v_lshl_add_u64 v[2:3], v[2:3], 3, s[8:9]
	v_lshlrev_b32_e32 v4, 3, v0
	s_xor_b64 exec, exec, s[0:1]
	s_cbranch_execz .LBB0_13
; %bb.12:
	v_mov_b32_e32 v5, 0
	v_or_b32_e32 v16, 0x300, v0
	v_or_b32_e32 v18, 0x200, v0
	v_lshl_add_u64 v[6:7], v[2:3], 0, v[4:5]
	v_lshlrev_b32_e32 v26, 3, v16
	v_mov_b32_e32 v27, v5
	v_lshlrev_b32_e32 v8, 3, v18
	v_mov_b32_e32 v9, v5
	global_load_dwordx2 v[22:23], v[6:7], off
	global_load_dwordx2 v[24:25], v[6:7], off offset:2048
	v_lshl_add_u64 v[6:7], v[2:3], 0, v[26:27]
	v_lshl_add_u64 v[8:9], v[2:3], 0, v[8:9]
	v_or_b32_e32 v14, 0x400, v0
	global_load_dwordx2 v[28:29], v[6:7], off
	global_load_dwordx2 v[30:31], v[8:9], off
	v_or_b32_e32 v12, 0x500, v0
	v_or_b32_e32 v10, 0x600, v0
	;; [unrolled: 1-line block ×11, first 2 shown]
	v_lshlrev_b32_e32 v32, 3, v14
	v_mov_b32_e32 v33, v5
	v_lshlrev_b32_e32 v34, 3, v12
	v_mov_b32_e32 v35, v5
	;; [unrolled: 2-line block ×12, first 2 shown]
	v_lshl_add_u64 v[32:33], v[2:3], 0, v[32:33]
	v_lshl_add_u64 v[34:35], v[2:3], 0, v[34:35]
	;; [unrolled: 1-line block ×11, first 2 shown]
	global_load_dwordx2 v[60:61], v[32:33], off
	global_load_dwordx2 v[62:63], v[34:35], off
	;; [unrolled: 1-line block ×11, first 2 shown]
	v_lshl_add_u64 v[32:33], v[2:3], 0, v[54:55]
	global_load_dwordx2 v[32:33], v[32:33], off
	v_add_u32_e32 v1, 0, v4
	v_add_u32_e32 v5, 0, v26
	;; [unrolled: 1-line block ×3, first 2 shown]
	v_or_b32_e32 v6, 0x100, v0
	s_waitcnt vmcnt(14)
	ds_write2st64_b64 v1, v[22:23], v[24:25] offset1:4
	s_waitcnt vmcnt(13)
	ds_write_b64 v5, v[28:29]
	s_waitcnt vmcnt(11)
	ds_write2st64_b64 v1, v[30:31], v[60:61] offset0:8 offset1:16
	s_waitcnt vmcnt(9)
	ds_write2st64_b64 v1, v[62:63], v[64:65] offset0:20 offset1:24
	s_waitcnt vmcnt(8)
	ds_write_b64 v21, v[66:67]
	s_waitcnt vmcnt(6)
	ds_write2st64_b64 v1, v[68:69], v[70:71] offset0:32 offset1:36
	v_add_u32_e32 v5, 0, v46
	s_waitcnt vmcnt(4)
	ds_write_b64 v5, v[74:75]
	s_waitcnt vmcnt(3)
	ds_write2st64_b64 v1, v[72:73], v[76:77] offset0:40 offset1:48
	s_waitcnt vmcnt(1)
	ds_write2st64_b64 v1, v[78:79], v[80:81] offset0:52 offset1:56
	v_add_u32_e32 v1, 0, v54
	s_waitcnt vmcnt(0)
	ds_write_b64 v1, v[32:33]
.LBB0_13:
	s_or_b64 exec, exec, s[0:1]
	v_add_u32_e32 v1, 0, v4
	s_waitcnt lgkmcnt(0)
	s_barrier
	ds_read2st64_b64 v[22:25], v1 offset1:4
	ds_read2st64_b64 v[26:29], v1 offset0:32 offset1:36
	ds_read2st64_b64 v[30:33], v1 offset0:8 offset1:12
	;; [unrolled: 1-line block ×5, first 2 shown]
	s_waitcnt lgkmcnt(4)
	v_pk_add_f32 v[46:47], v[22:23], v[26:27] neg_lo:[0,1] neg_hi:[0,1]
	v_pk_add_f32 v[48:49], v[24:25], v[28:29] neg_lo:[0,1] neg_hi:[0,1]
	v_pk_fma_f32 v[50:51], v[22:23], 2.0, v[46:47] op_sel_hi:[1,0,1] neg_lo:[0,0,1] neg_hi:[0,0,1]
	v_pk_fma_f32 v[52:53], v[24:25], 2.0, v[48:49] op_sel_hi:[1,0,1] neg_lo:[0,0,1] neg_hi:[0,0,1]
	ds_read2st64_b64 v[22:25], v1 offset0:24 offset1:28
	ds_read2st64_b64 v[26:29], v1 offset0:56 offset1:60
	s_waitcnt lgkmcnt(2)
	v_pk_add_f32 v[42:43], v[34:35], v[42:43] neg_lo:[0,1] neg_hi:[0,1]
	v_pk_add_f32 v[38:39], v[30:31], v[38:39] neg_lo:[0,1] neg_hi:[0,1]
	v_pk_fma_f32 v[34:35], v[34:35], 2.0, v[42:43] op_sel_hi:[1,0,1] neg_lo:[0,0,1] neg_hi:[0,0,1]
	v_pk_add_f32 v[54:55], v[46:47], v[42:43] op_sel:[0,1] op_sel_hi:[1,0] neg_lo:[0,1] neg_hi:[0,1]
	s_waitcnt lgkmcnt(0)
	v_pk_add_f32 v[26:27], v[22:23], v[26:27] neg_lo:[0,1] neg_hi:[0,1]
	v_pk_add_f32 v[42:43], v[46:47], v[42:43] op_sel:[0,1] op_sel_hi:[1,0]
	v_pk_add_f32 v[44:45], v[36:37], v[44:45] neg_lo:[0,1] neg_hi:[0,1]
	v_pk_fma_f32 v[22:23], v[22:23], 2.0, v[26:27] op_sel_hi:[1,0,1] neg_lo:[0,0,1] neg_hi:[0,0,1]
	v_mov_b32_e32 v55, v43
	v_pk_add_f32 v[42:43], v[38:39], v[26:27] op_sel:[0,1] op_sel_hi:[1,0] neg_lo:[0,1] neg_hi:[0,1]
	v_pk_add_f32 v[26:27], v[38:39], v[26:27] op_sel:[0,1] op_sel_hi:[1,0]
	v_pk_fma_f32 v[36:37], v[36:37], 2.0, v[44:45] op_sel_hi:[1,0,1] neg_lo:[0,0,1] neg_hi:[0,0,1]
	v_pk_add_f32 v[40:41], v[32:33], v[40:41] neg_lo:[0,1] neg_hi:[0,1]
	v_pk_add_f32 v[28:29], v[24:25], v[28:29] neg_lo:[0,1] neg_hi:[0,1]
	v_mov_b32_e32 v43, v27
	v_pk_add_f32 v[26:27], v[48:49], v[44:45] op_sel:[0,1] op_sel_hi:[1,0] neg_lo:[0,1] neg_hi:[0,1]
	v_pk_add_f32 v[44:45], v[48:49], v[44:45] op_sel:[0,1] op_sel_hi:[1,0]
	v_pk_fma_f32 v[24:25], v[24:25], 2.0, v[28:29] op_sel_hi:[1,0,1] neg_lo:[0,0,1] neg_hi:[0,0,1]
	v_mov_b32_e32 v27, v45
	v_pk_add_f32 v[44:45], v[40:41], v[28:29] op_sel:[0,1] op_sel_hi:[1,0] neg_lo:[0,1] neg_hi:[0,1]
	v_pk_add_f32 v[28:29], v[40:41], v[28:29] op_sel:[0,1] op_sel_hi:[1,0]
	v_pk_fma_f32 v[30:31], v[30:31], 2.0, v[38:39] op_sel_hi:[1,0,1] neg_lo:[0,0,1] neg_hi:[0,0,1]
	v_mov_b32_e32 v45, v29
	v_pk_fma_f32 v[28:29], v[46:47], 2.0, v[54:55] op_sel_hi:[1,0,1] neg_lo:[0,0,1] neg_hi:[0,0,1]
	v_pk_fma_f32 v[38:39], v[38:39], 2.0, v[42:43] op_sel_hi:[1,0,1] neg_lo:[0,0,1] neg_hi:[0,0,1]
	s_mov_b32 s0, 0x3f3504f3
	v_pk_mul_f32 v[46:47], v[38:39], s[0:1] op_sel_hi:[1,0]
	v_pk_fma_f32 v[38:39], v[38:39], s[0:1], v[28:29] op_sel_hi:[1,0,1] neg_lo:[1,0,0] neg_hi:[1,0,0]
	v_pk_fma_f32 v[32:33], v[32:33], 2.0, v[40:41] op_sel_hi:[1,0,1] neg_lo:[0,0,1] neg_hi:[0,0,1]
	v_pk_add_f32 v[56:57], v[38:39], v[46:47] op_sel:[0,1] op_sel_hi:[1,0] neg_lo:[0,1] neg_hi:[0,1]
	v_pk_add_f32 v[38:39], v[38:39], v[46:47] op_sel:[0,1] op_sel_hi:[1,0]
	v_pk_fma_f32 v[46:47], v[48:49], 2.0, v[26:27] op_sel_hi:[1,0,1] neg_lo:[0,0,1] neg_hi:[0,0,1]
	v_pk_fma_f32 v[40:41], v[40:41], 2.0, v[44:45] op_sel_hi:[1,0,1] neg_lo:[0,0,1] neg_hi:[0,0,1]
	v_mov_b32_e32 v57, v39
	v_pk_mul_f32 v[48:49], v[40:41], s[0:1] op_sel_hi:[1,0]
	v_pk_fma_f32 v[40:41], v[40:41], s[0:1], v[46:47] op_sel_hi:[1,0,1] neg_lo:[1,0,0] neg_hi:[1,0,0]
	v_pk_fma_f32 v[28:29], v[28:29], 2.0, v[56:57] op_sel_hi:[1,0,1] neg_lo:[0,0,1] neg_hi:[0,0,1]
	v_pk_add_f32 v[58:59], v[40:41], v[48:49] op_sel:[0,1] op_sel_hi:[1,0] neg_lo:[0,1] neg_hi:[0,1]
	v_pk_add_f32 v[40:41], v[40:41], v[48:49] op_sel:[0,1] op_sel_hi:[1,0]
	s_mov_b32 s2, 0x3f6c835e
	v_mov_b32_e32 v59, v41
	v_pk_fma_f32 v[46:47], v[46:47], 2.0, v[58:59] op_sel_hi:[1,0,1] neg_lo:[0,0,1] neg_hi:[0,0,1]
	s_mov_b32 s6, 0x3ec3ef15
	v_pk_fma_f32 v[48:49], v[46:47], s[2:3], v[28:29] op_sel_hi:[1,0,1] neg_lo:[1,0,0] neg_hi:[1,0,0]
	v_pk_mul_f32 v[46:47], v[46:47], s[6:7] op_sel_hi:[1,0]
	v_pk_add_f32 v[34:35], v[50:51], v[34:35] neg_lo:[0,1] neg_hi:[0,1]
	v_pk_add_f32 v[22:23], v[30:31], v[22:23] neg_lo:[0,1] neg_hi:[0,1]
	;; [unrolled: 1-line block ×4, first 2 shown]
	v_pk_add_f32 v[60:61], v[48:49], v[46:47] op_sel:[0,1] op_sel_hi:[1,0] neg_lo:[0,1] neg_hi:[0,1]
	v_pk_add_f32 v[46:47], v[48:49], v[46:47] op_sel:[0,1] op_sel_hi:[1,0]
	v_pk_fma_f32 v[48:49], v[50:51], 2.0, v[34:35] op_sel_hi:[1,0,1] neg_lo:[0,0,1] neg_hi:[0,0,1]
	v_pk_fma_f32 v[30:31], v[30:31], 2.0, v[22:23] op_sel_hi:[1,0,1] neg_lo:[0,0,1] neg_hi:[0,0,1]
	;; [unrolled: 1-line block ×4, first 2 shown]
	v_pk_add_f32 v[30:31], v[48:49], v[30:31] neg_lo:[0,1] neg_hi:[0,1]
	v_pk_add_f32 v[32:33], v[50:51], v[32:33] neg_lo:[0,1] neg_hi:[0,1]
	v_pk_fma_f32 v[48:49], v[48:49], 2.0, v[30:31] op_sel_hi:[1,0,1] neg_lo:[0,0,1] neg_hi:[0,0,1]
	v_pk_fma_f32 v[50:51], v[50:51], 2.0, v[32:33] op_sel_hi:[1,0,1] neg_lo:[0,0,1] neg_hi:[0,0,1]
	s_movk_i32 s1, 0x78
	v_pk_add_f32 v[50:51], v[48:49], v[50:51] neg_lo:[0,1] neg_hi:[0,1]
	v_mov_b32_e32 v61, v47
	v_pk_fma_f32 v[48:49], v[48:49], 2.0, v[50:51] op_sel_hi:[1,0,1] neg_lo:[0,0,1] neg_hi:[0,0,1]
	v_pk_fma_f32 v[28:29], v[28:29], 2.0, v[60:61] op_sel_hi:[1,0,1] neg_lo:[0,0,1] neg_hi:[0,0,1]
	v_mad_u32_u24 v5, v0, s1, v1
	s_barrier
	ds_write2_b64 v5, v[48:49], v[28:29] offset1:1
	v_pk_add_f32 v[28:29], v[34:35], v[22:23] op_sel:[0,1] op_sel_hi:[1,0] neg_lo:[0,1] neg_hi:[0,1]
	v_pk_add_f32 v[22:23], v[34:35], v[22:23] op_sel:[0,1] op_sel_hi:[1,0]
	v_pk_add_f32 v[48:49], v[36:37], v[24:25] op_sel:[0,1] op_sel_hi:[1,0] neg_lo:[0,1] neg_hi:[0,1]
	v_pk_add_f32 v[24:25], v[36:37], v[24:25] op_sel:[0,1] op_sel_hi:[1,0]
	v_mov_b32_e32 v29, v23
	v_mov_b32_e32 v49, v25
	v_pk_fma_f32 v[34:35], v[34:35], 2.0, v[28:29] op_sel_hi:[1,0,1] neg_lo:[0,0,1] neg_hi:[0,0,1]
	v_pk_fma_f32 v[36:37], v[36:37], 2.0, v[48:49] op_sel_hi:[1,0,1] neg_lo:[0,0,1] neg_hi:[0,0,1]
	v_mov_b32_e32 v59, v25
	v_pk_mul_f32 v[52:53], v[36:37], s[0:1] op_sel_hi:[1,0]
	v_pk_fma_f32 v[36:37], v[36:37], s[0:1], v[34:35] op_sel_hi:[1,0,1] neg_lo:[1,0,0] neg_hi:[1,0,0]
	v_mov_b32_e32 v22, v23
	v_pk_add_f32 v[62:63], v[36:37], v[52:53] op_sel:[0,1] op_sel_hi:[1,0] neg_lo:[0,1] neg_hi:[0,1]
	v_pk_add_f32 v[36:37], v[36:37], v[52:53] op_sel:[0,1] op_sel_hi:[1,0]
	v_pk_mul_f32 v[52:53], v[42:43], s[0:1] op_sel_hi:[1,0]
	v_pk_fma_f32 v[42:43], v[42:43], s[0:1], v[54:55] op_sel_hi:[1,0,1]
	v_mov_b32_e32 v63, v37
	v_pk_add_f32 v[64:65], v[42:43], v[52:53] op_sel:[0,1] op_sel_hi:[1,0] neg_lo:[0,1] neg_hi:[0,1]
	v_pk_add_f32 v[42:43], v[42:43], v[52:53] op_sel:[0,1] op_sel_hi:[1,0]
	v_pk_mul_f32 v[52:53], v[44:45], s[0:1] op_sel_hi:[1,0]
	v_pk_fma_f32 v[44:45], v[44:45], s[0:1], v[26:27] op_sel_hi:[1,0,1]
	v_mov_b32_e32 v65, v43
	v_pk_add_f32 v[66:67], v[44:45], v[52:53] op_sel:[0,1] op_sel_hi:[1,0] neg_lo:[0,1] neg_hi:[0,1]
	v_pk_add_f32 v[44:45], v[44:45], v[52:53] op_sel:[0,1] op_sel_hi:[1,0]
	v_pk_fma_f32 v[52:53], v[54:55], 2.0, v[64:65] op_sel_hi:[1,0,1] neg_lo:[0,0,1] neg_hi:[0,0,1]
	v_mov_b32_e32 v67, v45
	v_pk_fma_f32 v[26:27], v[26:27], 2.0, v[66:67] op_sel_hi:[1,0,1] neg_lo:[0,0,1] neg_hi:[0,0,1]
	v_pk_fma_f32 v[34:35], v[34:35], 2.0, v[62:63] op_sel_hi:[1,0,1] neg_lo:[0,0,1] neg_hi:[0,0,1]
	v_pk_fma_f32 v[54:55], v[26:27], s[6:7], v[52:53] op_sel_hi:[1,0,1] neg_lo:[1,0,0] neg_hi:[1,0,0]
	v_pk_mul_f32 v[26:27], v[26:27], s[2:3] op_sel_hi:[1,0]
	s_mov_b32 s3, s0
	v_pk_add_f32 v[68:69], v[54:55], v[26:27] op_sel:[0,1] op_sel_hi:[1,0] neg_lo:[0,1] neg_hi:[0,1]
	v_pk_add_f32 v[26:27], v[54:55], v[26:27] op_sel:[0,1] op_sel_hi:[1,0]
	s_mov_b32 s7, s0
	v_mov_b32_e32 v69, v27
	v_pk_fma_f32 v[52:53], v[52:53], 2.0, v[68:69] op_sel_hi:[1,0,1] neg_lo:[0,0,1] neg_hi:[0,0,1]
	ds_write2_b64 v5, v[34:35], v[52:53] offset0:2 offset1:3
	v_pk_mul_f32 v[34:35], v[24:25], s[2:3]
	v_fmamk_f32 v26, v58, 0x3ec3ef15, v56
	v_add_f32_e32 v21, v23, v35
	v_mov_b32_e32 v35, v48
	v_mov_b32_e32 v34, v41
	v_pk_mul_f32 v[48:49], v[34:35], s[6:7]
	v_fmac_f32_e32 v26, 0xbf6c835e, v41
	v_add_f32_e32 v48, v49, v21
	v_fmamk_f32 v49, v66, 0x3f6c835e, v64
	v_fmac_f32_e32 v49, 0xbec3ef15, v45
	v_fmamk_f32 v21, v45, 0x3f6c835e, v43
	v_pk_add_f32 v[44:45], v[30:31], v[32:33] op_sel:[0,1] op_sel_hi:[1,0] neg_lo:[0,1] neg_hi:[0,1]
	v_pk_add_f32 v[32:33], v[30:31], v[32:33] op_sel:[0,1] op_sel_hi:[1,0]
	v_mov_b32_e32 v23, v64
	v_mov_b32_e32 v45, v33
	v_pk_fma_f32 v[30:31], v[30:31], 2.0, v[44:45] op_sel_hi:[1,0,1] neg_lo:[0,0,1] neg_hi:[0,0,1]
	ds_write_b64 v5, v[30:31] offset:32
	v_mov_b32_e32 v30, v39
	v_mov_b32_e32 v31, v28
	v_pk_fma_f32 v[24:25], v[34:35], s[6:7], v[30:31]
	v_fmac_f32_e32 v21, 0x3ec3ef15, v66
	v_pk_fma_f32 v[28:29], v[58:59], s[2:3], v[24:25]
	v_pk_fma_f32 v[24:25], v[58:59], s[2:3], v[24:25] neg_lo:[1,0,0] neg_hi:[1,0,0]
	v_pk_fma_f32 v[22:23], v[22:23], 2.0, v[48:49] op_sel_hi:[1,0,1] neg_lo:[0,0,1] neg_hi:[0,0,1]
	v_mov_b32_e32 v29, v25
	v_pk_fma_f32 v[24:25], v[30:31], 2.0, v[28:29] op_sel_hi:[1,0,1] neg_lo:[0,0,1] neg_hi:[0,0,1]
	ds_write2_b32 v5, v24, v25 offset0:11 offset1:12
	v_fma_f32 v24, v56, 2.0, -v26
	ds_write_b32 v5, v24 offset:40
	v_lshl_add_u32 v24, v0, 7, 0
	v_fma_f32 v25, v43, 2.0, -v21
	ds_write2_b32 v24, v22, v23 offset0:13 offset1:14
	ds_write_b32 v24, v25 offset:60
	ds_write2_b64 v5, v[50:51], v[60:61] offset0:8 offset1:9
	ds_write2_b64 v5, v[62:63], v[68:69] offset0:10 offset1:11
	ds_write_b64 v5, v[44:45] offset:96
	ds_write_b32 v5, v26 offset:104
	ds_write2_b32 v5, v28, v29 offset0:27 offset1:28
	ds_write2_b32 v24, v48, v49 offset0:29 offset1:30
	ds_write_b32 v24, v21 offset:124
	v_and_b32_e32 v5, 15, v0
	v_mul_u32_u24_e32 v5, 15, v5
	v_lshlrev_b32_e32 v5, 3, v5
	s_waitcnt lgkmcnt(0)
	s_barrier
	global_load_dwordx4 v[22:25], v5, s[4:5] offset:96
	global_load_dwordx2 v[42:43], v5, s[4:5] offset:112
	global_load_dwordx4 v[26:29], v5, s[4:5] offset:80
	global_load_dwordx4 v[30:33], v5, s[4:5] offset:64
	ds_read2st64_b64 v[34:37], v1 offset0:56 offset1:60
	ds_read2st64_b64 v[38:41], v1 offset0:48 offset1:52
	v_add_u32_e32 v21, 0x2800, v1
	v_lshl_add_u32 v7, v7, 3, 0
	v_lshl_add_u32 v9, v9, 3, 0
	;; [unrolled: 1-line block ×7, first 2 shown]
	s_waitcnt vmcnt(3)
	v_mov_b32_e32 v44, v25
	s_waitcnt lgkmcnt(1)
	v_pk_mul_f32 v[44:45], v[34:35], v[44:45] op_sel_hi:[1,0]
	s_waitcnt vmcnt(2)
	v_pk_mul_f32 v[46:47], v[36:37], v[42:43] op_sel:[0,1]
	s_nop 0
	v_pk_fma_f32 v[48:49], v[36:37], v[42:43], v[46:47] op_sel:[0,0,1] op_sel_hi:[1,1,0] neg_lo:[0,0,1] neg_hi:[0,0,1]
	v_pk_fma_f32 v[42:43], v[36:37], v[42:43], v[46:47] op_sel:[0,0,1] op_sel_hi:[1,0,0]
	v_pk_fma_f32 v[46:47], v[34:35], v[24:25], v[44:45] op_sel:[0,0,1] op_sel_hi:[1,1,0] neg_lo:[0,0,1] neg_hi:[0,0,1]
	v_pk_fma_f32 v[44:45], v[34:35], v[24:25], v[44:45] op_sel:[0,0,1] op_sel_hi:[1,0,0]
	s_waitcnt lgkmcnt(0)
	v_pk_mul_f32 v[24:25], v[40:41], v[22:23] op_sel:[0,1]
	s_waitcnt vmcnt(1)
	v_mov_b32_e32 v34, v29
	v_pk_fma_f32 v[50:51], v[40:41], v[22:23], v[24:25] op_sel:[0,0,1] op_sel_hi:[1,1,0] neg_lo:[0,0,1] neg_hi:[0,0,1]
	v_pk_fma_f32 v[40:41], v[40:41], v[22:23], v[24:25] op_sel:[0,0,1] op_sel_hi:[1,0,0]
	ds_read2st64_b64 v[22:25], v1 offset0:40 offset1:44
	v_pk_mul_f32 v[34:35], v[38:39], v[34:35] op_sel_hi:[1,0]
	v_mov_b32_e32 v47, v45
	v_pk_fma_f32 v[52:53], v[38:39], v[28:29], v[34:35] op_sel:[0,0,1] op_sel_hi:[1,1,0] neg_lo:[0,0,1] neg_hi:[0,0,1]
	v_pk_fma_f32 v[38:39], v[38:39], v[28:29], v[34:35] op_sel:[0,0,1] op_sel_hi:[1,0,0]
	global_load_dwordx4 v[34:37], v5, s[4:5] offset:48
	s_waitcnt lgkmcnt(0)
	v_pk_mul_f32 v[28:29], v[24:25], v[26:27] op_sel:[0,1]
	v_mov_b32_e32 v53, v39
	v_pk_fma_f32 v[54:55], v[24:25], v[26:27], v[28:29] op_sel:[0,0,1] op_sel_hi:[1,1,0] neg_lo:[0,0,1] neg_hi:[0,0,1]
	v_pk_fma_f32 v[56:57], v[24:25], v[26:27], v[28:29] op_sel:[0,0,1] op_sel_hi:[1,0,0]
	ds_read2st64_b64 v[24:27], v1 offset0:32 offset1:36
	s_waitcnt vmcnt(1)
	v_mov_b32_e32 v28, v33
	v_pk_mul_f32 v[28:29], v[22:23], v[28:29] op_sel_hi:[1,0]
	v_mov_b32_e32 v51, v41
	v_pk_fma_f32 v[58:59], v[22:23], v[32:33], v[28:29] op_sel:[0,0,1] op_sel_hi:[1,1,0] neg_lo:[0,0,1] neg_hi:[0,0,1]
	v_pk_fma_f32 v[60:61], v[22:23], v[32:33], v[28:29] op_sel:[0,0,1] op_sel_hi:[1,0,0]
	s_waitcnt lgkmcnt(0)
	v_pk_mul_f32 v[22:23], v[26:27], v[30:31] op_sel:[0,1]
	v_mov_b32_e32 v59, v61
	v_pk_fma_f32 v[62:63], v[26:27], v[30:31], v[22:23] op_sel:[0,0,1] op_sel_hi:[1,1,0] neg_lo:[0,0,1] neg_hi:[0,0,1]
	v_pk_fma_f32 v[64:65], v[26:27], v[30:31], v[22:23] op_sel:[0,0,1] op_sel_hi:[1,0,0]
	global_load_dwordx4 v[26:29], v5, s[4:5] offset:32
	v_mov_b32_e32 v63, v65
	v_mov_b32_e32 v55, v57
	;; [unrolled: 1-line block ×3, first 2 shown]
	s_waitcnt vmcnt(1)
	v_mov_b32_e32 v22, v37
	v_pk_mul_f32 v[22:23], v[24:25], v[22:23] op_sel_hi:[1,0]
	s_nop 0
	v_pk_fma_f32 v[66:67], v[24:25], v[36:37], v[22:23] op_sel:[0,0,1] op_sel_hi:[1,1,0] neg_lo:[0,0,1] neg_hi:[0,0,1]
	v_pk_fma_f32 v[36:37], v[24:25], v[36:37], v[22:23] op_sel:[0,0,1] op_sel_hi:[1,0,0]
	ds_read2st64_b64 v[22:25], v1 offset0:24 offset1:28
	v_mov_b32_e32 v67, v37
	s_waitcnt lgkmcnt(0)
	v_pk_mul_f32 v[30:31], v[24:25], v[34:35] op_sel:[0,1]
	s_nop 0
	v_pk_fma_f32 v[68:69], v[24:25], v[34:35], v[30:31] op_sel:[0,0,1] op_sel_hi:[1,1,0] neg_lo:[0,0,1] neg_hi:[0,0,1]
	v_pk_fma_f32 v[70:71], v[24:25], v[34:35], v[30:31] op_sel:[0,0,1] op_sel_hi:[1,0,0]
	s_waitcnt vmcnt(0)
	v_mov_b32_e32 v24, v29
	v_pk_mul_f32 v[24:25], v[22:23], v[24:25] op_sel_hi:[1,0]
	v_mov_b32_e32 v69, v71
	v_pk_fma_f32 v[72:73], v[22:23], v[28:29], v[24:25] op_sel:[0,0,1] op_sel_hi:[1,1,0] neg_lo:[0,0,1] neg_hi:[0,0,1]
	v_pk_fma_f32 v[74:75], v[22:23], v[28:29], v[24:25] op_sel:[0,0,1] op_sel_hi:[1,0,0]
	ds_read2st64_b64 v[22:25], v1 offset0:16 offset1:20
	v_mov_b32_e32 v73, v75
	v_pk_add_f32 v[44:45], v[68:69], v[48:49] neg_lo:[0,1] neg_hi:[0,1]
	s_waitcnt lgkmcnt(0)
	v_pk_mul_f32 v[28:29], v[24:25], v[26:27] op_sel:[0,1]
	s_nop 0
	v_pk_fma_f32 v[76:77], v[24:25], v[26:27], v[28:29] op_sel:[0,0,1] op_sel_hi:[1,1,0] neg_lo:[0,0,1] neg_hi:[0,0,1]
	v_pk_fma_f32 v[78:79], v[24:25], v[26:27], v[28:29] op_sel:[0,0,1] op_sel_hi:[1,0,0]
	global_load_dwordx4 v[24:27], v5, s[4:5] offset:16
	global_load_dwordx4 v[28:31], v5, s[4:5]
	v_mov_b32_e32 v77, v79
	v_pk_add_f32 v[38:39], v[76:77], v[50:51] neg_lo:[0,1] neg_hi:[0,1]
	v_lshlrev_b32_e32 v5, 4, v0
	v_pk_fma_f32 v[40:41], v[76:77], 2.0, v[38:39] op_sel_hi:[1,0,1] neg_lo:[0,0,1] neg_hi:[0,0,1]
	s_waitcnt vmcnt(1)
	v_pk_mul_f32 v[32:33], v[26:27], v[22:23] op_sel:[0,1]
	s_nop 0
	v_pk_fma_f32 v[80:81], v[26:27], v[22:23], v[32:33] op_sel:[0,0,1] op_sel_hi:[1,1,0] neg_lo:[0,0,1] neg_hi:[0,0,1]
	v_pk_fma_f32 v[26:27], v[26:27], v[22:23], v[32:33] op_sel:[0,0,1] op_sel_hi:[1,0,0]
	ds_read2st64_b64 v[32:35], v1 offset0:8 offset1:12
	v_mov_b32_e32 v81, v27
	v_pk_add_f32 v[26:27], v[80:81], v[52:53] neg_lo:[0,1] neg_hi:[0,1]
	s_waitcnt lgkmcnt(0)
	v_pk_mul_f32 v[22:23], v[24:25], v[34:35] op_sel:[0,1]
	s_nop 0
	v_pk_fma_f32 v[82:83], v[24:25], v[34:35], v[22:23] op_sel:[0,0,1] op_sel_hi:[1,1,0] neg_lo:[0,0,1] neg_hi:[0,0,1]
	v_pk_fma_f32 v[34:35], v[24:25], v[34:35], v[22:23] op_sel:[0,0,1] op_sel_hi:[1,0,0]
	s_waitcnt vmcnt(0)
	v_pk_mul_f32 v[22:23], v[30:31], v[32:33] op_sel:[0,1]
	v_mov_b32_e32 v83, v35
	v_pk_fma_f32 v[84:85], v[30:31], v[32:33], v[22:23] op_sel:[0,0,1] op_sel_hi:[1,1,0] neg_lo:[0,0,1] neg_hi:[0,0,1]
	v_pk_fma_f32 v[30:31], v[30:31], v[32:33], v[22:23] op_sel:[0,0,1] op_sel_hi:[1,0,0]
	ds_read2st64_b64 v[22:25], v1 offset1:4
	v_mov_b32_e32 v85, v31
	s_waitcnt lgkmcnt(0)
	s_barrier
	v_pk_mul_f32 v[32:33], v[28:29], v[24:25] op_sel:[0,1]
	s_nop 0
	v_pk_fma_f32 v[86:87], v[28:29], v[24:25], v[32:33] op_sel:[0,0,1] op_sel_hi:[1,1,0] neg_lo:[0,0,1] neg_hi:[0,0,1]
	v_pk_fma_f32 v[24:25], v[28:29], v[24:25], v[32:33] op_sel:[0,0,1] op_sel_hi:[1,0,0]
	v_pk_fma_f32 v[28:29], v[80:81], 2.0, v[26:27] op_sel_hi:[1,0,1] neg_lo:[0,0,1] neg_hi:[0,0,1]
	v_mov_b32_e32 v87, v25
	v_pk_add_f32 v[24:25], v[22:23], v[66:67] neg_lo:[0,1] neg_hi:[0,1]
	v_pk_add_f32 v[32:33], v[72:73], v[46:47] neg_lo:[0,1] neg_hi:[0,1]
	v_pk_add_f32 v[30:31], v[24:25], v[26:27] op_sel:[0,1] op_sel_hi:[1,0] neg_lo:[0,1] neg_hi:[0,1]
	v_pk_add_f32 v[26:27], v[24:25], v[26:27] op_sel:[0,1] op_sel_hi:[1,0]
	v_pk_fma_f32 v[34:35], v[72:73], 2.0, v[32:33] op_sel_hi:[1,0,1] neg_lo:[0,0,1] neg_hi:[0,0,1]
	v_mov_b32_e32 v31, v27
	v_pk_add_f32 v[26:27], v[84:85], v[58:59] neg_lo:[0,1] neg_hi:[0,1]
	v_pk_fma_f32 v[46:47], v[68:69], 2.0, v[44:45] op_sel_hi:[1,0,1] neg_lo:[0,0,1] neg_hi:[0,0,1]
	v_pk_add_f32 v[36:37], v[26:27], v[32:33] op_sel:[0,1] op_sel_hi:[1,0] neg_lo:[0,1] neg_hi:[0,1]
	v_pk_add_f32 v[32:33], v[26:27], v[32:33] op_sel:[0,1] op_sel_hi:[1,0]
	v_pk_fma_f32 v[22:23], v[22:23], 2.0, v[24:25] op_sel_hi:[1,0,1] neg_lo:[0,0,1] neg_hi:[0,0,1]
	v_mov_b32_e32 v37, v33
	v_pk_add_f32 v[32:33], v[86:87], v[62:63] neg_lo:[0,1] neg_hi:[0,1]
	v_pk_fma_f32 v[24:25], v[24:25], 2.0, v[30:31] op_sel_hi:[1,0,1] neg_lo:[0,0,1] neg_hi:[0,0,1]
	v_pk_add_f32 v[42:43], v[32:33], v[38:39] op_sel:[0,1] op_sel_hi:[1,0] neg_lo:[0,1] neg_hi:[0,1]
	v_pk_add_f32 v[38:39], v[32:33], v[38:39] op_sel:[0,1] op_sel_hi:[1,0]
	v_pk_add_f32 v[28:29], v[22:23], v[28:29] neg_lo:[0,1] neg_hi:[0,1]
	v_mov_b32_e32 v43, v39
	v_pk_add_f32 v[38:39], v[82:83], v[54:55] neg_lo:[0,1] neg_hi:[0,1]
	v_pk_fma_f32 v[22:23], v[22:23], 2.0, v[28:29] op_sel_hi:[1,0,1] neg_lo:[0,0,1] neg_hi:[0,0,1]
	v_pk_add_f32 v[48:49], v[38:39], v[44:45] op_sel:[0,1] op_sel_hi:[1,0] neg_lo:[0,1] neg_hi:[0,1]
	v_pk_add_f32 v[44:45], v[38:39], v[44:45] op_sel:[0,1] op_sel_hi:[1,0]
	v_pk_fma_f32 v[54:55], v[82:83], 2.0, v[38:39] op_sel_hi:[1,0,1] neg_lo:[0,0,1] neg_hi:[0,0,1]
	v_mov_b32_e32 v49, v45
	v_pk_fma_f32 v[44:45], v[84:85], 2.0, v[26:27] op_sel_hi:[1,0,1] neg_lo:[0,0,1] neg_hi:[0,0,1]
	v_pk_fma_f32 v[26:27], v[26:27], 2.0, v[36:37] op_sel_hi:[1,0,1] neg_lo:[0,0,1] neg_hi:[0,0,1]
	;; [unrolled: 1-line block ×3, first 2 shown]
	v_pk_mul_f32 v[50:51], v[26:27], s[0:1] op_sel_hi:[1,0]
	v_pk_fma_f32 v[26:27], v[26:27], s[0:1], v[24:25] op_sel_hi:[1,0,1] neg_lo:[1,0,0] neg_hi:[1,0,0]
	v_pk_mul_f32 v[56:57], v[38:39], s[0:1] op_sel_hi:[1,0]
	v_pk_add_f32 v[52:53], v[26:27], v[50:51] op_sel:[0,1] op_sel_hi:[1,0] neg_lo:[0,1] neg_hi:[0,1]
	v_pk_add_f32 v[26:27], v[26:27], v[50:51] op_sel:[0,1] op_sel_hi:[1,0]
	v_pk_fma_f32 v[50:51], v[86:87], 2.0, v[32:33] op_sel_hi:[1,0,1] neg_lo:[0,0,1] neg_hi:[0,0,1]
	v_pk_fma_f32 v[32:33], v[32:33], 2.0, v[42:43] op_sel_hi:[1,0,1] neg_lo:[0,0,1] neg_hi:[0,0,1]
	v_mov_b32_e32 v53, v27
	v_pk_fma_f32 v[38:39], v[38:39], s[0:1], v[32:33] op_sel_hi:[1,0,1] neg_lo:[1,0,0] neg_hi:[1,0,0]
	v_pk_fma_f32 v[24:25], v[24:25], 2.0, v[52:53] op_sel_hi:[1,0,1] neg_lo:[0,0,1] neg_hi:[0,0,1]
	v_pk_add_f32 v[58:59], v[38:39], v[56:57] op_sel:[0,1] op_sel_hi:[1,0] neg_lo:[0,1] neg_hi:[0,1]
	v_pk_add_f32 v[38:39], v[38:39], v[56:57] op_sel:[0,1] op_sel_hi:[1,0]
	v_pk_add_f32 v[40:41], v[50:51], v[40:41] neg_lo:[0,1] neg_hi:[0,1]
	v_mov_b32_e32 v59, v39
	v_pk_fma_f32 v[32:33], v[32:33], 2.0, v[58:59] op_sel_hi:[1,0,1] neg_lo:[0,0,1] neg_hi:[0,0,1]
	v_pk_add_f32 v[46:47], v[54:55], v[46:47] neg_lo:[0,1] neg_hi:[0,1]
	v_pk_fma_f32 v[56:57], v[32:33], s[2:3], v[24:25] op_sel_hi:[1,0,1] neg_lo:[1,0,0] neg_hi:[1,0,0]
	v_pk_mul_f32 v[32:33], v[32:33], s[6:7] op_sel_hi:[1,0]
	s_movk_i32 s1, 0xf0f
	v_pk_add_f32 v[60:61], v[56:57], v[32:33] op_sel:[0,1] op_sel_hi:[1,0] neg_lo:[0,1] neg_hi:[0,1]
	v_pk_add_f32 v[32:33], v[56:57], v[32:33] op_sel:[0,1] op_sel_hi:[1,0]
	v_bitop3_b32 v5, v5, s1, v0 bitop3:0xc8
	v_mov_b32_e32 v61, v33
	v_pk_add_f32 v[32:33], v[44:45], v[34:35] neg_lo:[0,1] neg_hi:[0,1]
	v_lshl_add_u32 v5, v5, 3, 0
	v_pk_fma_f32 v[34:35], v[44:45], 2.0, v[32:33] op_sel_hi:[1,0,1] neg_lo:[0,0,1] neg_hi:[0,0,1]
	v_pk_fma_f32 v[44:45], v[50:51], 2.0, v[40:41] op_sel_hi:[1,0,1] neg_lo:[0,0,1] neg_hi:[0,0,1]
	;; [unrolled: 1-line block ×3, first 2 shown]
	v_pk_add_f32 v[34:35], v[22:23], v[34:35] neg_lo:[0,1] neg_hi:[0,1]
	v_pk_add_f32 v[50:51], v[44:45], v[50:51] neg_lo:[0,1] neg_hi:[0,1]
	v_pk_fma_f32 v[22:23], v[22:23], 2.0, v[34:35] op_sel_hi:[1,0,1] neg_lo:[0,0,1] neg_hi:[0,0,1]
	v_pk_fma_f32 v[44:45], v[44:45], 2.0, v[50:51] op_sel_hi:[1,0,1] neg_lo:[0,0,1] neg_hi:[0,0,1]
	;; [unrolled: 1-line block ×3, first 2 shown]
	v_pk_add_f32 v[44:45], v[22:23], v[44:45] neg_lo:[0,1] neg_hi:[0,1]
	s_nop 0
	v_pk_fma_f32 v[22:23], v[22:23], 2.0, v[44:45] op_sel_hi:[1,0,1] neg_lo:[0,0,1] neg_hi:[0,0,1]
	ds_write2_b64 v5, v[22:23], v[24:25] offset1:16
	v_pk_add_f32 v[22:23], v[28:29], v[32:33] op_sel:[0,1] op_sel_hi:[1,0] neg_lo:[0,1] neg_hi:[0,1]
	v_pk_add_f32 v[24:25], v[28:29], v[32:33] op_sel:[0,1] op_sel_hi:[1,0]
	v_pk_add_f32 v[32:33], v[40:41], v[46:47] op_sel:[0,1] op_sel_hi:[1,0]
	v_mov_b32_e32 v23, v25
	v_pk_add_f32 v[24:25], v[40:41], v[46:47] op_sel:[0,1] op_sel_hi:[1,0] neg_lo:[0,1] neg_hi:[0,1]
	v_pk_fma_f32 v[28:29], v[28:29], 2.0, v[22:23] op_sel_hi:[1,0,1] neg_lo:[0,0,1] neg_hi:[0,0,1]
	v_mov_b32_e32 v25, v33
	v_pk_fma_f32 v[32:33], v[40:41], 2.0, v[24:25] op_sel_hi:[1,0,1] neg_lo:[0,0,1] neg_hi:[0,0,1]
	s_nop 0
	v_pk_mul_f32 v[40:41], v[32:33], s[0:1] op_sel_hi:[1,0]
	v_pk_fma_f32 v[32:33], v[32:33], s[0:1], v[28:29] op_sel_hi:[1,0,1] neg_lo:[1,0,0] neg_hi:[1,0,0]
	s_nop 0
	v_pk_add_f32 v[46:47], v[32:33], v[40:41] op_sel:[0,1] op_sel_hi:[1,0] neg_lo:[0,1] neg_hi:[0,1]
	v_pk_add_f32 v[32:33], v[32:33], v[40:41] op_sel:[0,1] op_sel_hi:[1,0]
	s_nop 0
	v_mov_b32_e32 v47, v33
	v_pk_mul_f32 v[32:33], v[36:37], s[0:1] op_sel_hi:[1,0]
	v_pk_fma_f32 v[36:37], v[36:37], s[0:1], v[30:31] op_sel_hi:[1,0,1]
	v_pk_fma_f32 v[28:29], v[28:29], 2.0, v[46:47] op_sel_hi:[1,0,1] neg_lo:[0,0,1] neg_hi:[0,0,1]
	v_pk_add_f32 v[40:41], v[36:37], v[32:33] op_sel:[0,1] op_sel_hi:[1,0] neg_lo:[0,1] neg_hi:[0,1]
	v_pk_add_f32 v[32:33], v[36:37], v[32:33] op_sel:[0,1] op_sel_hi:[1,0]
	v_pk_mul_f32 v[36:37], v[48:49], s[0:1] op_sel_hi:[1,0]
	v_pk_fma_f32 v[48:49], v[48:49], s[0:1], v[42:43] op_sel_hi:[1,0,1]
	v_mov_b32_e32 v41, v33
	v_pk_add_f32 v[54:55], v[48:49], v[36:37] op_sel:[0,1] op_sel_hi:[1,0] neg_lo:[0,1] neg_hi:[0,1]
	v_pk_add_f32 v[36:37], v[48:49], v[36:37] op_sel:[0,1] op_sel_hi:[1,0]
	v_pk_fma_f32 v[30:31], v[30:31], 2.0, v[40:41] op_sel_hi:[1,0,1] neg_lo:[0,0,1] neg_hi:[0,0,1]
	v_mov_b32_e32 v55, v37
	v_pk_fma_f32 v[42:43], v[42:43], 2.0, v[54:55] op_sel_hi:[1,0,1] neg_lo:[0,0,1] neg_hi:[0,0,1]
	s_nop 0
	v_pk_fma_f32 v[48:49], v[42:43], s[6:7], v[30:31] op_sel_hi:[1,0,1] neg_lo:[1,0,0] neg_hi:[1,0,0]
	v_pk_mul_f32 v[42:43], v[42:43], s[2:3] op_sel_hi:[1,0]
	s_nop 0
	v_pk_add_f32 v[56:57], v[48:49], v[42:43] op_sel:[0,1] op_sel_hi:[1,0] neg_lo:[0,1] neg_hi:[0,1]
	v_pk_add_f32 v[42:43], v[48:49], v[42:43] op_sel:[0,1] op_sel_hi:[1,0]
	s_nop 0
	v_mov_b32_e32 v57, v43
	v_pk_fma_f32 v[30:31], v[30:31], 2.0, v[56:57] op_sel_hi:[1,0,1] neg_lo:[0,0,1] neg_hi:[0,0,1]
	ds_write2_b64 v5, v[28:29], v[30:31] offset0:32 offset1:48
	v_fmamk_f32 v28, v58, 0x3ec3ef15, v52
	v_fmamk_f32 v30, v54, 0x3f6c835e, v40
	;; [unrolled: 1-line block ×3, first 2 shown]
	v_fmac_f32_e32 v28, 0xbf6c835e, v39
	v_fmamk_f32 v31, v37, 0x3f6c835e, v33
	v_fmac_f32_e32 v30, 0xbec3ef15, v37
	v_pk_add_f32 v[36:37], v[34:35], v[50:51] op_sel:[0,1] op_sel_hi:[1,0] neg_lo:[0,1] neg_hi:[0,1]
	v_pk_add_f32 v[38:39], v[34:35], v[50:51] op_sel:[0,1] op_sel_hi:[1,0]
	v_fmac_f32_e32 v29, 0x3f6c835e, v58
	v_mov_b32_e32 v37, v39
	v_fma_f32 v26, v52, 2.0, -v28
	v_fma_f32 v27, v27, 2.0, -v29
	v_pk_fma_f32 v[34:35], v[34:35], 2.0, v[36:37] op_sel_hi:[1,0,1] neg_lo:[0,0,1] neg_hi:[0,0,1]
	ds_write2_b64 v5, v[34:35], v[26:27] offset0:64 offset1:80
	v_pk_mul_f32 v[26:27], v[24:25], s[0:1] op_sel_hi:[1,0]
	v_pk_fma_f32 v[24:25], v[24:25], s[0:1], v[22:23] op_sel_hi:[1,0,1]
	v_fmac_f32_e32 v31, 0x3ec3ef15, v54
	v_pk_add_f32 v[34:35], v[24:25], v[26:27] op_sel:[0,1] op_sel_hi:[1,0] neg_lo:[0,1] neg_hi:[0,1]
	v_pk_add_f32 v[24:25], v[24:25], v[26:27] op_sel:[0,1] op_sel_hi:[1,0]
	v_fma_f32 v32, v40, 2.0, -v30
	v_mov_b32_e32 v35, v25
	v_fma_f32 v33, v33, 2.0, -v31
	v_pk_fma_f32 v[22:23], v[22:23], 2.0, v[34:35] op_sel_hi:[1,0,1] neg_lo:[0,0,1] neg_hi:[0,0,1]
	ds_write2_b64 v5, v[22:23], v[32:33] offset0:96 offset1:112
	ds_write2_b64 v5, v[44:45], v[60:61] offset0:128 offset1:144
	;; [unrolled: 1-line block ×5, first 2 shown]
	v_mul_u32_u24_e32 v5, 15, v0
	v_lshlrev_b32_e32 v5, 3, v5
	s_waitcnt lgkmcnt(0)
	s_barrier
	global_load_dwordx4 v[22:25], v5, s[4:5] offset:1920
	global_load_dwordx4 v[26:29], v5, s[4:5] offset:1952
	;; [unrolled: 1-line block ×5, first 2 shown]
	ds_read2st64_b64 v[42:45], v1 offset1:4
	ds_read2_b32 v[54:55], v21 offset1:1
	ds_read_b64 v[56:57], v1 offset:8192
	ds_read2st64_b64 v[46:49], v1 offset0:8 offset1:12
	ds_read2st64_b64 v[50:53], v1 offset0:24 offset1:28
	s_waitcnt lgkmcnt(3)
	v_mov_b32_e32 v63, v55
	v_mov_b32_e32 v59, v54
	;; [unrolled: 1-line block ×4, first 2 shown]
	s_waitcnt vmcnt(4)
	v_mov_b32_e32 v60, v23
	s_waitcnt vmcnt(3)
	v_mov_b32_e32 v61, v27
	v_pk_mul_f32 v[60:61], v[60:61], v[62:63]
	v_mov_b32_e32 v62, v22
	v_mov_b32_e32 v63, v26
	v_pk_fma_f32 v[58:59], v[62:63], v[58:59], v[60:61] neg_lo:[0,0,1] neg_hi:[0,0,1]
	v_mov_b32_e32 v60, v26
	v_mov_b32_e32 v61, v23
	;; [unrolled: 1-line block ×4, first 2 shown]
	v_pk_mul_f32 v[60:61], v[60:61], v[62:63]
	v_mov_b32_e32 v26, v27
	v_mov_b32_e32 v27, v22
	;; [unrolled: 1-line block ×3, first 2 shown]
	v_pk_fma_f32 v[44:45], v[26:27], v[54:55], v[60:61]
	s_waitcnt lgkmcnt(2)
	v_mov_b32_e32 v22, v57
	s_waitcnt vmcnt(2)
	v_pk_mul_f32 v[26:27], v[32:33], v[56:57] op_sel_hi:[1,0]
	s_nop 0
	v_pk_fma_f32 v[54:55], v[32:33], v[22:23], v[26:27] op_sel:[0,0,1] op_sel_hi:[1,1,0]
	v_pk_fma_f32 v[56:57], v[32:33], v[56:57], v[26:27] op_sel:[0,1,1] op_sel_hi:[1,1,0] neg_lo:[1,0,0] neg_hi:[1,0,0]
	s_waitcnt lgkmcnt(0)
	v_mov_b32_e32 v22, v50
	v_mov_b32_e32 v23, v46
	;; [unrolled: 1-line block ×5, first 2 shown]
	v_pk_mul_f32 v[32:33], v[24:25], v[46:47]
	v_pk_mul_f32 v[24:25], v[24:25], v[22:23]
	v_mov_b32_e32 v26, v28
	v_pk_fma_f32 v[50:51], v[26:27], v[22:23], v[32:33] neg_lo:[0,0,1] neg_hi:[0,0,1]
	v_pk_fma_f32 v[46:47], v[26:27], v[46:47], v[24:25]
	v_mov_b32_e32 v26, v52
	v_mov_b32_e32 v27, v48
	;; [unrolled: 1-line block ×3, first 2 shown]
	s_waitcnt vmcnt(1)
	v_mov_b32_e32 v30, v35
	v_mov_b32_e32 v48, v53
	v_pk_mul_f32 v[32:33], v[30:31], v[48:49]
	v_pk_mul_f32 v[30:31], v[30:31], v[26:27]
	v_mov_b32_e32 v28, v34
	ds_read2st64_b64 v[22:25], v1 offset0:32 offset1:36
	v_pk_fma_f32 v[48:49], v[28:29], v[48:49], v[30:31]
	v_pk_fma_f32 v[52:53], v[28:29], v[26:27], v[32:33] neg_lo:[0,0,1] neg_hi:[0,0,1]
	ds_read2st64_b64 v[26:29], v1 offset0:48 offset1:52
	v_mov_b32_e32 v30, v37
	s_waitcnt lgkmcnt(1)
	v_pk_mul_f32 v[30:31], v[22:23], v[30:31] op_sel_hi:[1,0]
	s_waitcnt vmcnt(0)
	v_mov_b32_e32 v34, v41
	v_pk_fma_f32 v[60:61], v[22:23], v[36:37], v[30:31] op_sel:[0,0,1] op_sel_hi:[1,1,0] neg_lo:[0,0,1] neg_hi:[0,0,1]
	v_pk_fma_f32 v[62:63], v[22:23], v[36:37], v[30:31] op_sel:[0,0,1] op_sel_hi:[1,0,0]
	global_load_dwordx4 v[30:33], v5, s[4:5] offset:1984
	s_waitcnt lgkmcnt(0)
	v_pk_mul_f32 v[22:23], v[26:27], v[40:41] op_sel_hi:[1,0]
	v_mov_b32_e32 v55, v57
	v_pk_fma_f32 v[64:65], v[26:27], v[34:35], v[22:23] op_sel:[0,0,1] op_sel_hi:[1,1,0]
	v_pk_fma_f32 v[40:41], v[26:27], v[34:35], v[22:23] op_sel:[0,0,1] op_sel_hi:[1,0,0] neg_lo:[1,0,0] neg_hi:[1,0,0]
	v_mov_b32_e32 v22, v28
	v_mov_b32_e32 v23, v24
	;; [unrolled: 1-line block ×3, first 2 shown]
	global_load_dwordx4 v[26:29], v5, s[4:5] offset:2016
	global_load_dwordx2 v[66:67], v5, s[4:5] offset:2032
	v_mov_b32_e32 v61, v63
	v_mov_b32_e32 v65, v41
	v_pk_add_f32 v[40:41], v[54:55], v[64:65] neg_lo:[0,1] neg_hi:[0,1]
	s_waitcnt vmcnt(2)
	v_mov_b32_e32 v35, v30
	s_waitcnt vmcnt(1)
	v_mov_b32_e32 v30, v27
	v_mov_b32_e32 v34, v26
	v_pk_mul_f32 v[26:27], v[22:23], v[30:31]
	s_nop 0
	v_pk_fma_f32 v[26:27], v[24:25], v[34:35], v[26:27]
	v_pk_mul_f32 v[24:25], v[24:25], v[30:31]
	v_pk_add_f32 v[26:27], v[44:45], v[26:27] neg_lo:[0,1] neg_hi:[0,1]
	v_pk_fma_f32 v[30:31], v[22:23], v[34:35], v[24:25] neg_lo:[0,0,1] neg_hi:[0,0,1]
	ds_read2st64_b64 v[22:25], v1 offset0:56 offset1:60
	ds_read2st64_b64 v[34:37], v1 offset0:40 offset1:44
	v_pk_add_f32 v[30:31], v[58:59], v[30:31] op_sel:[0,1] op_sel_hi:[1,0] neg_lo:[0,1] neg_hi:[0,1]
	s_waitcnt lgkmcnt(0)
	s_barrier
	v_mov_b32_e32 v68, v22
	v_mov_b32_e32 v69, v34
	;; [unrolled: 1-line block ×5, first 2 shown]
	v_pk_mul_f32 v[70:71], v[34:35], v[32:33]
	v_pk_mul_f32 v[32:33], v[68:69], v[32:33]
	v_mov_b32_e32 v22, v28
	v_pk_fma_f32 v[28:29], v[68:69], v[22:23], v[70:71] neg_lo:[0,0,1] neg_hi:[0,0,1]
	v_pk_fma_f32 v[22:23], v[34:35], v[22:23], v[32:33]
	v_mov_b32_e32 v33, v38
	s_waitcnt vmcnt(0)
	v_mov_b32_e32 v38, v67
	v_mov_b32_e32 v34, v24
	;; [unrolled: 1-line block ×5, first 2 shown]
	v_pk_mul_f32 v[24:25], v[36:37], v[38:39]
	v_pk_mul_f32 v[38:39], v[34:35], v[38:39]
	v_pk_add_f32 v[28:29], v[50:51], v[28:29] neg_lo:[0,1] neg_hi:[0,1]
	v_pk_add_f32 v[22:23], v[46:47], v[22:23] neg_lo:[0,1] neg_hi:[0,1]
	v_pk_fma_f32 v[36:37], v[36:37], v[32:33], v[38:39]
	v_pk_fma_f32 v[24:25], v[34:35], v[32:33], v[24:25] neg_lo:[0,0,1] neg_hi:[0,0,1]
	v_pk_add_f32 v[32:33], v[28:29], v[22:23] op_sel:[1,0] op_sel_hi:[0,1] neg_lo:[0,1] neg_hi:[0,1]
	v_pk_add_f32 v[34:35], v[28:29], v[22:23] op_sel:[1,0] op_sel_hi:[0,1]
	v_mov_b32_e32 v33, v35
	v_pk_add_f32 v[24:25], v[52:53], v[24:25] neg_lo:[0,1] neg_hi:[0,1]
	v_pk_add_f32 v[34:35], v[48:49], v[36:37] neg_lo:[0,1] neg_hi:[0,1]
	v_pk_mul_f32 v[62:63], v[32:33], s[0:1] op_sel_hi:[1,0]
	v_pk_add_f32 v[36:37], v[24:25], v[34:35] op_sel:[1,0] op_sel_hi:[0,1] neg_lo:[0,1] neg_hi:[0,1]
	v_pk_add_f32 v[38:39], v[24:25], v[34:35] op_sel:[1,0] op_sel_hi:[0,1]
	v_mov_b32_e32 v37, v39
	v_pk_add_f32 v[38:39], v[42:43], v[60:61] neg_lo:[0,1] neg_hi:[0,1]
	s_nop 0
	v_pk_add_f32 v[56:57], v[38:39], v[40:41] neg_lo:[0,1] neg_hi:[0,1]
	v_pk_add_f32 v[60:61], v[38:39], v[40:41]
	v_pk_fma_f32 v[40:41], v[54:55], 2.0, v[40:41] op_sel_hi:[1,0,1] neg_lo:[0,0,1] neg_hi:[0,0,1]
	v_mov_b32_e32 v57, v61
	v_pk_fma_f32 v[64:65], v[32:33], s[0:1], v[56:57] op_sel_hi:[1,0,1]
	v_mov_b32_e32 v54, v47
	v_pk_add_f32 v[66:67], v[64:65], v[62:63] op_sel:[0,1] op_sel_hi:[1,0] neg_lo:[0,1] neg_hi:[0,1]
	v_pk_add_f32 v[62:63], v[64:65], v[62:63] op_sel:[0,1] op_sel_hi:[1,0]
	v_pk_mul_f32 v[64:65], v[36:37], s[0:1] op_sel_hi:[1,0]
	v_fma_f32 v5, v61, 2.0, -v63
	v_mov_b32_e32 v67, v63
	v_pk_add_f32 v[60:61], v[30:31], v[26:27] neg_lo:[0,1] neg_hi:[0,1]
	v_pk_add_f32 v[62:63], v[30:31], v[26:27]
	v_mov_b32_e32 v55, v51
	v_mov_b32_e32 v61, v63
	v_pk_fma_f32 v[68:69], v[36:37], s[0:1], v[60:61] op_sel_hi:[1,0,1]
	v_mov_b32_e32 v47, v50
	v_pk_add_f32 v[70:71], v[68:69], v[64:65] op_sel:[0,1] op_sel_hi:[1,0] neg_lo:[0,1] neg_hi:[0,1]
	v_pk_add_f32 v[64:65], v[68:69], v[64:65] op_sel:[0,1] op_sel_hi:[1,0]
	v_mov_b32_e32 v50, v22
	v_mov_b32_e32 v71, v65
	v_fma_f32 v21, v63, 2.0, -v65
	v_pk_fma_f32 v[62:63], v[70:71], s[2:3], v[66:67] op_sel_hi:[1,0,1]
	v_pk_mul_f32 v[64:65], v[70:71], s[6:7] op_sel_hi:[1,0]
	v_mov_b32_e32 v51, v28
	v_pk_add_f32 v[68:69], v[62:63], v[64:65] op_sel:[0,1] op_sel_hi:[1,0] neg_lo:[0,1] neg_hi:[0,1]
	v_pk_add_f32 v[62:63], v[62:63], v[64:65] op_sel:[0,1] op_sel_hi:[1,0]
	v_pk_fma_f32 v[46:47], v[46:47], 2.0, v[50:51] op_sel_hi:[1,0,1] neg_lo:[0,0,1] neg_hi:[0,0,1]
	v_mov_b32_e32 v50, v58
	v_mov_b32_e32 v58, v59
	;; [unrolled: 1-line block ×10, first 2 shown]
	v_pk_fma_f32 v[26:27], v[58:59], 2.0, v[30:31] op_sel_hi:[1,0,1] neg_lo:[0,0,1] neg_hi:[0,0,1]
	v_mov_b32_e32 v30, v49
	v_mov_b32_e32 v49, v52
	;; [unrolled: 1-line block ×3, first 2 shown]
	v_pk_fma_f32 v[22:23], v[22:23], 2.0, v[32:33] op_sel_hi:[1,0,1] neg_lo:[0,0,1] neg_hi:[0,0,1]
	v_mov_b32_e32 v34, v25
	v_pk_fma_f32 v[32:33], v[38:39], 2.0, v[56:57] op_sel_hi:[1,0,1] neg_lo:[0,0,1] neg_hi:[0,0,1]
	v_mov_b32_e32 v69, v63
	v_mov_b32_e32 v63, v29
	v_mov_b32_e32 v31, v53
	v_mov_b32_e32 v58, v35
	v_mov_b32_e32 v59, v25
	v_mov_b32_e32 v53, v24
	v_pk_fma_f32 v[28:29], v[44:45], 2.0, v[60:61] op_sel_hi:[1,0,1] neg_lo:[0,0,1] neg_hi:[0,0,1]
	v_pk_fma_f32 v[24:25], v[34:35], 2.0, v[36:37] op_sel_hi:[1,0,1] neg_lo:[0,0,1] neg_hi:[0,0,1]
	v_pk_mul_f32 v[34:35], v[22:23], s[0:1] op_sel_hi:[1,0]
	v_pk_fma_f32 v[22:23], v[22:23], s[0:1], v[32:33] op_sel_hi:[1,0,1] neg_lo:[1,0,0] neg_hi:[1,0,0]
	v_pk_fma_f32 v[42:43], v[42:43], 2.0, v[38:39] op_sel_hi:[1,0,1] neg_lo:[0,0,1] neg_hi:[0,0,1]
	v_pk_add_f32 v[36:37], v[22:23], v[34:35] op_sel:[0,1] op_sel_hi:[1,0] neg_lo:[0,1] neg_hi:[0,1]
	v_pk_add_f32 v[22:23], v[22:23], v[34:35] op_sel:[0,1] op_sel_hi:[1,0]
	v_pk_mul_f32 v[34:35], v[24:25], s[0:1] op_sel_hi:[1,0]
	v_pk_fma_f32 v[24:25], v[24:25], s[0:1], v[28:29] op_sel_hi:[1,0,1] neg_lo:[1,0,0] neg_hi:[1,0,0]
	v_mov_b32_e32 v37, v23
	v_pk_add_f32 v[38:39], v[24:25], v[34:35] op_sel:[0,1] op_sel_hi:[1,0] neg_lo:[0,1] neg_hi:[0,1]
	v_pk_add_f32 v[24:25], v[24:25], v[34:35] op_sel:[0,1] op_sel_hi:[1,0]
	v_pk_fma_f32 v[50:51], v[50:51], 2.0, v[44:45] op_sel_hi:[1,0,1] neg_lo:[0,0,1] neg_hi:[0,0,1]
	v_mov_b32_e32 v39, v25
	v_fma_f32 v44, v29, 2.0, -v25
	v_fma_f32 v45, v28, 2.0, -v38
	v_pk_fma_f32 v[24:25], v[38:39], s[6:7], v[36:37] op_sel_hi:[1,0,1]
	v_pk_mul_f32 v[28:29], v[38:39], s[2:3] op_sel_hi:[1,0]
	v_pk_fma_f32 v[54:55], v[54:55], 2.0, v[62:63] op_sel_hi:[1,0,1] neg_lo:[0,0,1] neg_hi:[0,0,1]
	v_pk_add_f32 v[34:35], v[24:25], v[28:29] op_sel:[0,1] op_sel_hi:[1,0] neg_lo:[0,1] neg_hi:[0,1]
	v_pk_add_f32 v[24:25], v[24:25], v[28:29] op_sel:[0,1] op_sel_hi:[1,0]
	v_pk_fma_f32 v[30:31], v[30:31], 2.0, v[58:59] op_sel_hi:[1,0,1] neg_lo:[0,0,1] neg_hi:[0,0,1]
	v_mov_b32_e32 v35, v25
	v_fma_f32 v25, v33, 2.0, -v23
	v_fma_f32 v24, v32, 2.0, -v36
	v_fmamk_f32 v22, v45, 0xbf6c835e, v24
	v_fmamk_f32 v23, v44, 0xbf6c835e, v25
	v_pk_fma_f32 v[48:49], v[48:49], 2.0, v[52:53] op_sel_hi:[1,0,1] neg_lo:[0,0,1] neg_hi:[0,0,1]
	v_fmac_f32_e32 v22, 0xbec3ef15, v44
	v_fmac_f32_e32 v23, 0x3ec3ef15, v45
	v_pk_add_f32 v[40:41], v[42:43], v[40:41] op_sel:[0,1] op_sel_hi:[1,0] neg_lo:[0,1] neg_hi:[0,1]
	v_pk_add_f32 v[46:47], v[54:55], v[46:47] neg_lo:[0,1] neg_hi:[0,1]
	v_pk_add_f32 v[26:27], v[50:51], v[26:27] neg_lo:[0,1] neg_hi:[0,1]
	v_pk_add_f32 v[48:49], v[30:31], v[48:49] neg_lo:[0,1] neg_hi:[0,1]
	v_fma_f32 v24, v24, 2.0, -v22
	v_fma_f32 v25, v25, 2.0, -v23
	v_lshl_add_u32 v29, v6, 3, 0
	v_pk_add_f32 v[52:53], v[40:41], v[46:47] neg_lo:[0,1] neg_hi:[0,1]
	v_pk_add_f32 v[58:59], v[40:41], v[46:47]
	ds_write_b64 v29, v[24:25]
	v_pk_fma_f32 v[24:25], v[54:55], 2.0, v[46:47] op_sel_hi:[1,0,1] neg_lo:[0,0,1] neg_hi:[0,0,1]
	v_pk_fma_f32 v[30:31], v[30:31], 2.0, v[48:49] op_sel_hi:[1,0,1] neg_lo:[0,0,1] neg_hi:[0,0,1]
	;; [unrolled: 1-line block ×4, first 2 shown]
	v_mov_b32_e32 v53, v59
	v_pk_add_f32 v[58:59], v[26:27], v[48:49] neg_lo:[0,1] neg_hi:[0,1]
	v_pk_add_f32 v[62:63], v[26:27], v[48:49]
	v_pk_add_f32 v[42:43], v[32:33], v[24:25] op_sel:[0,1] op_sel_hi:[1,0] neg_lo:[0,1] neg_hi:[0,1]
	v_pk_add_f32 v[44:45], v[38:39], v[30:31] op_sel:[1,0] op_sel_hi:[0,1] neg_lo:[0,1] neg_hi:[0,1]
	v_mov_b32_e32 v59, v63
	v_pk_add_f32 v[46:47], v[42:43], v[44:45] neg_lo:[0,1] neg_hi:[0,1]
	v_pk_add_f32 v[24:25], v[42:43], v[44:45]
	v_pk_mul_f32 v[62:63], v[58:59], s[0:1] op_sel_hi:[1,0]
	v_mov_b32_e32 v47, v25
	v_pk_fma_f32 v[24:25], v[26:27], 2.0, v[58:59] op_sel_hi:[1,0,1] neg_lo:[0,0,1] neg_hi:[0,0,1]
	v_pk_fma_f32 v[26:27], v[40:41], 2.0, v[52:53] op_sel_hi:[1,0,1] neg_lo:[0,0,1] neg_hi:[0,0,1]
	v_pk_mul_f32 v[30:31], v[24:25], s[0:1] op_sel_hi:[1,0]
	v_pk_fma_f32 v[24:25], v[24:25], s[0:1], v[26:27] op_sel_hi:[1,0,1] neg_lo:[1,0,0] neg_hi:[1,0,0]
	v_pk_fma_f32 v[64:65], v[58:59], s[0:1], v[52:53] op_sel_hi:[1,0,1]
	v_pk_add_f32 v[40:41], v[24:25], v[30:31] op_sel:[0,1] op_sel_hi:[1,0] neg_lo:[0,1] neg_hi:[0,1]
	v_pk_add_f32 v[24:25], v[24:25], v[30:31] op_sel:[0,1] op_sel_hi:[1,0]
	v_pk_add_f32 v[72:73], v[64:65], v[62:63] op_sel:[0,1] op_sel_hi:[1,0] neg_lo:[0,1] neg_hi:[0,1]
	v_mov_b32_e32 v41, v25
	v_pk_add_f32 v[62:63], v[64:65], v[62:63] op_sel:[0,1] op_sel_hi:[1,0]
	v_pk_fma_f32 v[24:25], v[26:27], 2.0, v[40:41] op_sel_hi:[1,0,1] neg_lo:[0,0,1] neg_hi:[0,0,1]
	v_lshl_add_u32 v30, v18, 3, 0
	v_fma_f32 v62, v60, 2.0, -v70
	ds_write_b64 v30, v[24:25]
	v_fma_f32 v24, v56, 2.0, -v66
	v_fmamk_f32 v48, v62, 0xbec3ef15, v24
	v_fmamk_f32 v49, v21, 0xbec3ef15, v5
	v_fmac_f32_e32 v48, 0xbf6c835e, v21
	v_fmac_f32_e32 v49, 0x3f6c835e, v62
	v_fma_f32 v24, v24, 2.0, -v48
	v_fma_f32 v25, v5, 2.0, -v49
	v_lshl_add_u32 v28, v16, 3, 0
	ds_write_b64 v28, v[24:25]
	v_lshl_add_u32 v27, v14, 3, 0
	v_pk_fma_f32 v[24:25], v[42:43], 2.0, v[46:47] op_sel_hi:[1,0,1] neg_lo:[0,0,1] neg_hi:[0,0,1]
	ds_write_b64 v27, v[24:25]
	v_pk_fma_f32 v[24:25], v[36:37], 2.0, v[34:35] op_sel_hi:[1,0,1] neg_lo:[0,0,1] neg_hi:[0,0,1]
	v_lshl_add_u32 v26, v12, 3, 0
	v_mov_b32_e32 v73, v63
	ds_write_b64 v26, v[24:25]
	v_pk_fma_f32 v[32:33], v[32:33], 2.0, v[42:43] op_sel_hi:[1,0,1] neg_lo:[0,0,1] neg_hi:[0,0,1]
	v_lshl_add_u32 v25, v20, 3, 0
	v_pk_fma_f32 v[20:21], v[38:39], 2.0, v[44:45] op_sel:[1,0,0] op_sel_hi:[0,0,1] neg_lo:[0,0,1] neg_hi:[0,0,1]
	v_pk_fma_f32 v[36:37], v[52:53], 2.0, v[72:73] op_sel_hi:[1,0,1] neg_lo:[0,0,1] neg_hi:[0,0,1]
	v_lshl_add_u32 v24, v10, 3, 0
	v_pk_add_f32 v[20:21], v[32:33], v[20:21] op_sel:[0,1] op_sel_hi:[1,0] neg_lo:[0,1] neg_hi:[0,1]
	ds_write_b64 v24, v[36:37]
	v_pk_fma_f32 v[36:37], v[66:67], 2.0, v[68:69] op_sel_hi:[1,0,1] neg_lo:[0,0,1] neg_hi:[0,0,1]
	v_lshl_add_u32 v5, v8, 3, 0
	v_pk_fma_f32 v[32:33], v[32:33], 2.0, v[20:21] op_sel_hi:[1,0,1] neg_lo:[0,0,1] neg_hi:[0,0,1]
	ds_write_b64 v5, v[36:37]
	ds_write_b64 v1, v[32:33]
	;; [unrolled: 1-line block ×10, first 2 shown]
	s_waitcnt lgkmcnt(0)
	s_barrier
	ds_read_b64 v[22:23], v1
	s_add_u32 s2, s4, 0x7f80
	s_addc_u32 s3, s5, 0
	v_sub_u32_e32 v25, 0, v4
	v_cmp_ne_u32_e64 s[0:1], 0, v0
                                        ; implicit-def: $vgpr21
                                        ; implicit-def: $vgpr9
	s_and_saveexec_b64 s[4:5], s[0:1]
	s_xor_b64 s[0:1], exec, s[4:5]
	s_cbranch_execz .LBB0_15
; %bb.14:
	global_load_dwordx2 v[20:21], v4, s[2:3]
	ds_read_b64 v[32:33], v25 offset:32768
	s_waitcnt lgkmcnt(0)
	v_pk_add_f32 v[34:35], v[32:33], v[22:23]
	v_pk_add_f32 v[22:23], v[22:23], v[32:33] neg_lo:[0,1] neg_hi:[0,1]
	v_pk_mul_f32 v[32:33], v[34:35], 0.5 op_sel_hi:[1,0]
	v_mul_f32_e32 v7, 0.5, v22
	v_mul_f32_e32 v9, 0.5, v23
	s_waitcnt vmcnt(0)
	v_mul_f32_e32 v22, v21, v7
	v_mov_b32_e32 v23, v20
	v_fma_f32 v36, v21, v7, v32
	v_fma_f32 v11, v33, v21, v9
	v_fma_f32 v9, v33, v21, -v9
	v_pk_mul_f32 v[32:33], v[32:33], v[22:23]
	v_pk_fma_f32 v[22:23], v[34:35], 0.5, v[22:23] op_sel_hi:[1,0,1] neg_lo:[0,0,1] neg_hi:[0,0,1]
	v_fma_f32 v11, -v20, v7, v11
	v_fma_f32 v9, -v20, v7, v9
	v_mov_b32_e32 v7, v22
	v_mov_b32_e32 v37, v33
	ds_write_b32 v1, v11 offset:4
	ds_write_b32 v25, v9 offset:32772
	v_pk_add_f32 v[20:21], v[6:7], v[36:37] neg_lo:[0,1] neg_hi:[0,1]
	v_add_f32_e32 v9, v33, v36
                                        ; implicit-def: $vgpr22_vgpr23
.LBB0_15:
	s_andn2_saveexec_b64 s[0:1], s[0:1]
	s_cbranch_execz .LBB0_17
; %bb.16:
	v_mov_b32_e32 v7, 0
	ds_write_b32 v1, v7 offset:4
	ds_write_b32 v25, v7 offset:32772
	ds_read_b32 v9, v7 offset:16388
	s_waitcnt lgkmcnt(3)
	v_pk_add_f32 v[20:21], v[22:23], v[22:23] op_sel:[0,1] op_sel_hi:[0,1] neg_lo:[0,1] neg_hi:[0,1]
	s_waitcnt lgkmcnt(0)
	v_xor_b32_e32 v9, 0x80000000, v9
	ds_write_b32 v7, v9 offset:16388
	v_add_f32_e32 v9, v22, v23
.LBB0_17:
	s_or_b64 exec, exec, s[0:1]
	v_mov_b32_e32 v7, 0
	s_waitcnt lgkmcnt(0)
	v_lshl_add_u64 v[22:23], v[6:7], 3, s[2:3]
	global_load_dwordx2 v[22:23], v[22:23], off
	v_mov_b32_e32 v19, v7
	v_lshl_add_u64 v[18:19], v[18:19], 3, s[2:3]
	global_load_dwordx2 v[18:19], v[18:19], off
	v_mov_b32_e32 v17, v7
	;; [unrolled: 3-line block ×4, first 2 shown]
	ds_write_b32 v1, v9
	ds_write_b32 v25, v21 offset:32768
	v_lshl_add_u64 v[12:13], v[12:13], 3, s[2:3]
	ds_read_b64 v[32:33], v29
	ds_read_b64 v[34:35], v25 offset:30720
	global_load_dwordx2 v[12:13], v[12:13], off
	v_mov_b32_e32 v21, 0.5
	v_mov_b32_e32 v36, v21
	v_mov_b32_e32 v11, v7
	s_waitcnt lgkmcnt(0)
	v_pk_add_f32 v[42:43], v[32:33], v[34:35]
	v_pk_add_f32 v[32:33], v[32:33], v[34:35] neg_lo:[0,1] neg_hi:[0,1]
	v_mov_b32_e32 v34, v43
	v_mov_b32_e32 v35, v32
	v_pk_mul_f32 v[34:35], v[34:35], 0.5 op_sel_hi:[1,0]
	v_lshl_add_u64 v[10:11], v[10:11], 3, s[2:3]
	v_mov_b32_e32 v43, v34
	v_mov_b32_e32 v32, v35
	;; [unrolled: 1-line block ×4, first 2 shown]
	v_lshl_add_u64 v[8:9], v[8:9], 3, s[2:3]
	v_mov_b32_e32 v40, v21
	s_waitcnt vmcnt(4)
	v_mov_b32_e32 v37, v23
	v_mov_b32_e32 v20, v23
	v_pk_mul_f32 v[36:37], v[42:43], v[36:37]
	s_waitcnt vmcnt(3)
	v_mov_b32_e32 v39, v19
	v_pk_fma_f32 v[42:43], v[20:21], v[32:33], v[36:37] neg_lo:[1,0,0] neg_hi:[1,0,0]
	v_pk_fma_f32 v[32:33], v[20:21], v[32:33], v[36:37]
	v_pk_fma_f32 v[36:37], v[22:23], v[34:35], v[42:43] op_sel_hi:[0,1,1] neg_lo:[1,0,0] neg_hi:[1,0,0]
	v_pk_fma_f32 v[42:43], v[22:23], v[34:35], v[32:33] op_sel_hi:[0,1,1]
	v_pk_fma_f32 v[22:23], v[22:23], v[34:35], v[32:33] op_sel_hi:[0,1,1] neg_lo:[1,0,0] neg_hi:[1,0,0]
	v_mov_b32_e32 v43, v23
	ds_write_b64 v29, v[42:43]
	ds_write_b64 v25, v[36:37] offset:30720
	ds_read_b64 v[22:23], v30
	ds_read_b64 v[32:33], v25 offset:28672
	global_load_dwordx2 v[10:11], v[10:11], off
	v_mov_b32_e32 v20, v19
	s_waitcnt vmcnt(3)
	v_mov_b32_e32 v41, v17
	s_waitcnt lgkmcnt(0)
	v_pk_add_f32 v[34:35], v[22:23], v[32:33]
	v_pk_add_f32 v[22:23], v[22:23], v[32:33] neg_lo:[0,1] neg_hi:[0,1]
	v_mov_b32_e32 v32, v35
	v_mov_b32_e32 v33, v22
	v_pk_mul_f32 v[32:33], v[32:33], 0.5 op_sel_hi:[1,0]
	s_nop 0
	v_mov_b32_e32 v35, v32
	v_mov_b32_e32 v22, v33
	v_pk_mul_f32 v[34:35], v[34:35], v[38:39]
	s_nop 0
	v_pk_fma_f32 v[36:37], v[20:21], v[22:23], v[34:35] neg_lo:[1,0,0] neg_hi:[1,0,0]
	v_pk_fma_f32 v[22:23], v[20:21], v[22:23], v[34:35]
	v_pk_fma_f32 v[34:35], v[18:19], v[32:33], v[36:37] op_sel_hi:[0,1,1] neg_lo:[1,0,0] neg_hi:[1,0,0]
	v_pk_fma_f32 v[36:37], v[18:19], v[32:33], v[22:23] op_sel_hi:[0,1,1]
	v_pk_fma_f32 v[18:19], v[18:19], v[32:33], v[22:23] op_sel_hi:[0,1,1] neg_lo:[1,0,0] neg_hi:[1,0,0]
	v_mov_b32_e32 v37, v19
	ds_write_b64 v30, v[36:37]
	ds_write_b64 v25, v[34:35] offset:28672
	ds_read_b64 v[18:19], v28
	ds_read_b64 v[22:23], v25 offset:26624
	global_load_dwordx2 v[8:9], v[8:9], off
	v_mov_b32_e32 v20, v17
	s_waitcnt lgkmcnt(0)
	v_pk_add_f32 v[30:31], v[18:19], v[22:23]
	v_pk_add_f32 v[18:19], v[18:19], v[22:23] neg_lo:[0,1] neg_hi:[0,1]
	v_mov_b32_e32 v22, v31
	v_mov_b32_e32 v23, v18
	v_pk_mul_f32 v[22:23], v[22:23], 0.5 op_sel_hi:[1,0]
	s_nop 0
	v_mov_b32_e32 v31, v22
	v_mov_b32_e32 v18, v23
	v_pk_mul_f32 v[30:31], v[30:31], v[40:41]
	s_nop 0
	v_pk_fma_f32 v[32:33], v[20:21], v[18:19], v[30:31] neg_lo:[1,0,0] neg_hi:[1,0,0]
	v_pk_fma_f32 v[18:19], v[20:21], v[18:19], v[30:31]
	v_pk_fma_f32 v[30:31], v[16:17], v[22:23], v[32:33] op_sel_hi:[0,1,1] neg_lo:[1,0,0] neg_hi:[1,0,0]
	v_pk_fma_f32 v[32:33], v[16:17], v[22:23], v[18:19] op_sel_hi:[0,1,1]
	v_pk_fma_f32 v[16:17], v[16:17], v[22:23], v[18:19] op_sel_hi:[0,1,1] neg_lo:[1,0,0] neg_hi:[1,0,0]
	v_mov_b32_e32 v33, v17
	ds_write_b64 v28, v[32:33]
	ds_write_b64 v25, v[30:31] offset:26624
	ds_read_b64 v[16:17], v27
	ds_read_b64 v[18:19], v25 offset:24576
	v_mov_b32_e32 v22, v21
	s_waitcnt vmcnt(3)
	v_mov_b32_e32 v23, v15
	v_mov_b32_e32 v20, v15
	s_waitcnt lgkmcnt(0)
	v_pk_add_f32 v[28:29], v[16:17], v[18:19]
	v_pk_add_f32 v[16:17], v[16:17], v[18:19] neg_lo:[0,1] neg_hi:[0,1]
	v_mov_b32_e32 v18, v29
	v_mov_b32_e32 v19, v16
	v_pk_mul_f32 v[18:19], v[18:19], 0.5 op_sel_hi:[1,0]
	s_nop 0
	v_mov_b32_e32 v29, v18
	v_mov_b32_e32 v16, v19
	v_pk_mul_f32 v[22:23], v[28:29], v[22:23]
	s_nop 0
	v_pk_fma_f32 v[28:29], v[20:21], v[16:17], v[22:23] neg_lo:[1,0,0] neg_hi:[1,0,0]
	v_pk_fma_f32 v[16:17], v[20:21], v[16:17], v[22:23]
	v_pk_fma_f32 v[22:23], v[14:15], v[18:19], v[28:29] op_sel_hi:[0,1,1] neg_lo:[1,0,0] neg_hi:[1,0,0]
	v_pk_fma_f32 v[28:29], v[14:15], v[18:19], v[16:17] op_sel_hi:[0,1,1]
	v_pk_fma_f32 v[14:15], v[14:15], v[18:19], v[16:17] op_sel_hi:[0,1,1] neg_lo:[1,0,0] neg_hi:[1,0,0]
	v_mov_b32_e32 v29, v15
	ds_write_b64 v27, v[28:29]
	ds_write_b64 v25, v[22:23] offset:24576
	ds_read_b64 v[14:15], v26
	ds_read_b64 v[16:17], v25 offset:22528
	v_mov_b32_e32 v18, v21
	s_waitcnt vmcnt(2)
	v_mov_b32_e32 v19, v13
	v_mov_b32_e32 v20, v13
	s_waitcnt lgkmcnt(0)
	v_pk_add_f32 v[22:23], v[14:15], v[16:17]
	v_pk_add_f32 v[14:15], v[14:15], v[16:17] neg_lo:[0,1] neg_hi:[0,1]
	v_mov_b32_e32 v16, v23
	v_mov_b32_e32 v17, v14
	v_pk_mul_f32 v[16:17], v[16:17], 0.5 op_sel_hi:[1,0]
	s_nop 0
	v_mov_b32_e32 v23, v16
	v_mov_b32_e32 v14, v17
	v_pk_mul_f32 v[18:19], v[22:23], v[18:19]
	s_nop 0
	v_pk_fma_f32 v[22:23], v[20:21], v[14:15], v[18:19] neg_lo:[1,0,0] neg_hi:[1,0,0]
	v_pk_fma_f32 v[14:15], v[20:21], v[14:15], v[18:19]
	v_pk_fma_f32 v[18:19], v[12:13], v[16:17], v[22:23] op_sel_hi:[0,1,1] neg_lo:[1,0,0] neg_hi:[1,0,0]
	v_pk_fma_f32 v[22:23], v[12:13], v[16:17], v[14:15] op_sel_hi:[0,1,1]
	v_pk_fma_f32 v[12:13], v[12:13], v[16:17], v[14:15] op_sel_hi:[0,1,1] neg_lo:[1,0,0] neg_hi:[1,0,0]
	v_mov_b32_e32 v23, v13
	ds_write_b64 v26, v[22:23]
	ds_write_b64 v25, v[18:19] offset:22528
	ds_read_b64 v[12:13], v24
	ds_read_b64 v[14:15], v25 offset:20480
	v_mov_b32_e32 v16, v21
	s_waitcnt vmcnt(1)
	v_mov_b32_e32 v17, v11
	v_mov_b32_e32 v20, v11
	s_waitcnt lgkmcnt(0)
	v_pk_add_f32 v[18:19], v[12:13], v[14:15]
	v_pk_add_f32 v[12:13], v[12:13], v[14:15] neg_lo:[0,1] neg_hi:[0,1]
	v_mov_b32_e32 v14, v19
	v_mov_b32_e32 v15, v12
	v_pk_mul_f32 v[14:15], v[14:15], 0.5 op_sel_hi:[1,0]
	s_nop 0
	v_mov_b32_e32 v19, v14
	v_mov_b32_e32 v12, v15
	v_pk_mul_f32 v[16:17], v[18:19], v[16:17]
	s_nop 0
	v_pk_fma_f32 v[18:19], v[20:21], v[12:13], v[16:17] neg_lo:[1,0,0] neg_hi:[1,0,0]
	v_pk_fma_f32 v[12:13], v[20:21], v[12:13], v[16:17]
	v_pk_fma_f32 v[16:17], v[10:11], v[14:15], v[18:19] op_sel_hi:[0,1,1] neg_lo:[1,0,0] neg_hi:[1,0,0]
	v_pk_fma_f32 v[18:19], v[10:11], v[14:15], v[12:13] op_sel_hi:[0,1,1]
	v_pk_fma_f32 v[10:11], v[10:11], v[14:15], v[12:13] op_sel_hi:[0,1,1] neg_lo:[1,0,0] neg_hi:[1,0,0]
	v_mov_b32_e32 v19, v11
	ds_write_b64 v24, v[18:19]
	ds_write_b64 v25, v[16:17] offset:20480
	ds_read_b64 v[10:11], v5
	ds_read_b64 v[12:13], v25 offset:18432
	v_mov_b32_e32 v14, v21
	s_waitcnt vmcnt(0)
	v_mov_b32_e32 v15, v9
	v_mov_b32_e32 v20, v9
	s_waitcnt lgkmcnt(0)
	v_pk_add_f32 v[16:17], v[10:11], v[12:13]
	v_pk_add_f32 v[10:11], v[10:11], v[12:13] neg_lo:[0,1] neg_hi:[0,1]
	v_mov_b32_e32 v12, v17
	v_mov_b32_e32 v13, v10
	v_pk_mul_f32 v[12:13], v[12:13], 0.5 op_sel_hi:[1,0]
	s_nop 0
	v_mov_b32_e32 v17, v12
	v_mov_b32_e32 v10, v13
	v_pk_mul_f32 v[14:15], v[16:17], v[14:15]
	s_nop 0
	v_pk_fma_f32 v[16:17], v[20:21], v[10:11], v[14:15] neg_lo:[1,0,0] neg_hi:[1,0,0]
	v_pk_fma_f32 v[10:11], v[20:21], v[10:11], v[14:15]
	v_pk_fma_f32 v[14:15], v[8:9], v[12:13], v[16:17] op_sel_hi:[0,1,1] neg_lo:[1,0,0] neg_hi:[1,0,0]
	v_pk_fma_f32 v[16:17], v[8:9], v[12:13], v[10:11] op_sel_hi:[0,1,1]
	v_pk_fma_f32 v[8:9], v[8:9], v[12:13], v[10:11] op_sel_hi:[0,1,1] neg_lo:[1,0,0] neg_hi:[1,0,0]
	v_mov_b32_e32 v17, v9
	ds_write_b64 v5, v[16:17]
	ds_write_b64 v25, v[14:15] offset:18432
	s_waitcnt lgkmcnt(0)
	s_barrier
	s_and_saveexec_b64 s[0:1], vcc
	s_cbranch_execz .LBB0_20
; %bb.18:
	ds_read2st64_b64 v[8:11], v1 offset1:4
	ds_read2st64_b64 v[12:15], v1 offset0:8 offset1:16
	v_mov_b32_e32 v5, v7
	v_lshl_add_u64 v[16:17], v[2:3], 0, v[4:5]
	v_or_b32_e32 v6, 0x1000, v4
	s_waitcnt lgkmcnt(1)
	global_store_dwordx2 v[16:17], v[8:9], off
	global_store_dwordx2 v[16:17], v[10:11], off offset:2048
	v_lshl_add_u64 v[8:9], v[2:3], 0, v[6:7]
	v_or_b32_e32 v6, 0x1800, v4
	s_waitcnt lgkmcnt(0)
	global_store_dwordx2 v[8:9], v[12:13], off
	v_add_u32_e32 v5, 0, v6
	v_lshl_add_u64 v[12:13], v[2:3], 0, v[6:7]
	v_or_b32_e32 v6, 0x2000, v4
	v_lshl_add_u64 v[16:17], v[2:3], 0, v[6:7]
	v_or_b32_e32 v6, 0x2800, v4
	v_lshl_add_u64 v[18:19], v[2:3], 0, v[6:7]
	v_or_b32_e32 v6, 0x3000, v4
	v_lshl_add_u64 v[20:21], v[2:3], 0, v[6:7]
	v_or_b32_e32 v6, 0x3800, v4
	v_add_u32_e32 v38, 0, v6
	v_lshl_add_u64 v[22:23], v[2:3], 0, v[6:7]
	v_or_b32_e32 v6, 0x4000, v4
	v_lshl_add_u64 v[24:25], v[2:3], 0, v[6:7]
	v_or_b32_e32 v6, 0x4800, v4
	v_lshl_add_u64 v[26:27], v[2:3], 0, v[6:7]
	v_or_b32_e32 v6, 0x5000, v4
	v_lshl_add_u64 v[28:29], v[2:3], 0, v[6:7]
	v_or_b32_e32 v6, 0x5800, v4
	;; [unrolled: 9-line block ×3, first 2 shown]
	ds_read_b64 v[4:5], v5
	ds_read2st64_b64 v[8:11], v1 offset0:20 offset1:24
	v_add_u32_e32 v42, 0, v6
	ds_read_b64 v[38:39], v38
	ds_read_b64 v[40:41], v40
	;; [unrolled: 1-line block ×3, first 2 shown]
	s_waitcnt lgkmcnt(4)
	global_store_dwordx2 v[12:13], v[4:5], off
	global_store_dwordx2 v[16:17], v[14:15], off
	ds_read2st64_b64 v[12:15], v1 offset0:32 offset1:36
	s_waitcnt lgkmcnt(4)
	global_store_dwordx2 v[18:19], v[8:9], off
	global_store_dwordx2 v[20:21], v[10:11], off
	ds_read2st64_b64 v[8:11], v1 offset0:40 offset1:48
	s_waitcnt lgkmcnt(4)
	global_store_dwordx2 v[22:23], v[38:39], off
	s_waitcnt lgkmcnt(1)
	global_store_dwordx2 v[24:25], v[12:13], off
	s_movk_i32 s0, 0xff
	ds_read2st64_b64 v[16:19], v1 offset0:52 offset1:56
	v_lshl_add_u64 v[4:5], v[2:3], 0, v[6:7]
	v_cmp_eq_u32_e32 vcc, s0, v0
	global_store_dwordx2 v[26:27], v[14:15], off
	s_waitcnt lgkmcnt(1)
	global_store_dwordx2 v[28:29], v[8:9], off
	global_store_dwordx2 v[30:31], v[40:41], off
	global_store_dwordx2 v[32:33], v[10:11], off
	s_waitcnt lgkmcnt(0)
	global_store_dwordx2 v[34:35], v[16:17], off
	global_store_dwordx2 v[36:37], v[18:19], off
	;; [unrolled: 1-line block ×3, first 2 shown]
	s_and_b64 exec, exec, vcc
	s_cbranch_execz .LBB0_20
; %bb.19:
	v_mov_b32_e32 v0, 0
	ds_read_b64 v[0:1], v0 offset:32768
	v_add_co_u32_e32 v2, vcc, 0x8000, v2
	s_nop 1
	v_addc_co_u32_e32 v3, vcc, 0, v3, vcc
	s_waitcnt lgkmcnt(0)
	global_store_dwordx2 v[2:3], v[0:1], off
.LBB0_20:
	s_endpgm
	.section	.rodata,"a",@progbits
	.p2align	6, 0x0
	.amdhsa_kernel fft_rtc_fwd_len4096_factors_16_16_16_wgs_256_tpt_256_halfLds_sp_ip_CI_unitstride_sbrr_R2C_dirReg
		.amdhsa_group_segment_fixed_size 0
		.amdhsa_private_segment_fixed_size 0
		.amdhsa_kernarg_size 88
		.amdhsa_user_sgpr_count 2
		.amdhsa_user_sgpr_dispatch_ptr 0
		.amdhsa_user_sgpr_queue_ptr 0
		.amdhsa_user_sgpr_kernarg_segment_ptr 1
		.amdhsa_user_sgpr_dispatch_id 0
		.amdhsa_user_sgpr_kernarg_preload_length 0
		.amdhsa_user_sgpr_kernarg_preload_offset 0
		.amdhsa_user_sgpr_private_segment_size 0
		.amdhsa_uses_dynamic_stack 0
		.amdhsa_enable_private_segment 0
		.amdhsa_system_sgpr_workgroup_id_x 1
		.amdhsa_system_sgpr_workgroup_id_y 0
		.amdhsa_system_sgpr_workgroup_id_z 0
		.amdhsa_system_sgpr_workgroup_info 0
		.amdhsa_system_vgpr_workitem_id 0
		.amdhsa_next_free_vgpr 88
		.amdhsa_next_free_sgpr 22
		.amdhsa_accum_offset 88
		.amdhsa_reserve_vcc 1
		.amdhsa_float_round_mode_32 0
		.amdhsa_float_round_mode_16_64 0
		.amdhsa_float_denorm_mode_32 3
		.amdhsa_float_denorm_mode_16_64 3
		.amdhsa_dx10_clamp 1
		.amdhsa_ieee_mode 1
		.amdhsa_fp16_overflow 0
		.amdhsa_tg_split 0
		.amdhsa_exception_fp_ieee_invalid_op 0
		.amdhsa_exception_fp_denorm_src 0
		.amdhsa_exception_fp_ieee_div_zero 0
		.amdhsa_exception_fp_ieee_overflow 0
		.amdhsa_exception_fp_ieee_underflow 0
		.amdhsa_exception_fp_ieee_inexact 0
		.amdhsa_exception_int_div_zero 0
	.end_amdhsa_kernel
	.text
.Lfunc_end0:
	.size	fft_rtc_fwd_len4096_factors_16_16_16_wgs_256_tpt_256_halfLds_sp_ip_CI_unitstride_sbrr_R2C_dirReg, .Lfunc_end0-fft_rtc_fwd_len4096_factors_16_16_16_wgs_256_tpt_256_halfLds_sp_ip_CI_unitstride_sbrr_R2C_dirReg
                                        ; -- End function
	.section	.AMDGPU.csdata,"",@progbits
; Kernel info:
; codeLenInByte = 8812
; NumSgprs: 28
; NumVgprs: 88
; NumAgprs: 0
; TotalNumVgprs: 88
; ScratchSize: 0
; MemoryBound: 0
; FloatMode: 240
; IeeeMode: 1
; LDSByteSize: 0 bytes/workgroup (compile time only)
; SGPRBlocks: 3
; VGPRBlocks: 10
; NumSGPRsForWavesPerEU: 28
; NumVGPRsForWavesPerEU: 88
; AccumOffset: 88
; Occupancy: 5
; WaveLimiterHint : 1
; COMPUTE_PGM_RSRC2:SCRATCH_EN: 0
; COMPUTE_PGM_RSRC2:USER_SGPR: 2
; COMPUTE_PGM_RSRC2:TRAP_HANDLER: 0
; COMPUTE_PGM_RSRC2:TGID_X_EN: 1
; COMPUTE_PGM_RSRC2:TGID_Y_EN: 0
; COMPUTE_PGM_RSRC2:TGID_Z_EN: 0
; COMPUTE_PGM_RSRC2:TIDIG_COMP_CNT: 0
; COMPUTE_PGM_RSRC3_GFX90A:ACCUM_OFFSET: 21
; COMPUTE_PGM_RSRC3_GFX90A:TG_SPLIT: 0
	.text
	.p2alignl 6, 3212836864
	.fill 256, 4, 3212836864
	.type	__hip_cuid_6ade9852b3473ac2,@object ; @__hip_cuid_6ade9852b3473ac2
	.section	.bss,"aw",@nobits
	.globl	__hip_cuid_6ade9852b3473ac2
__hip_cuid_6ade9852b3473ac2:
	.byte	0                               ; 0x0
	.size	__hip_cuid_6ade9852b3473ac2, 1

	.ident	"AMD clang version 19.0.0git (https://github.com/RadeonOpenCompute/llvm-project roc-6.4.0 25133 c7fe45cf4b819c5991fe208aaa96edf142730f1d)"
	.section	".note.GNU-stack","",@progbits
	.addrsig
	.addrsig_sym __hip_cuid_6ade9852b3473ac2
	.amdgpu_metadata
---
amdhsa.kernels:
  - .agpr_count:     0
    .args:
      - .actual_access:  read_only
        .address_space:  global
        .offset:         0
        .size:           8
        .value_kind:     global_buffer
      - .offset:         8
        .size:           8
        .value_kind:     by_value
      - .actual_access:  read_only
        .address_space:  global
        .offset:         16
        .size:           8
        .value_kind:     global_buffer
      - .actual_access:  read_only
        .address_space:  global
        .offset:         24
        .size:           8
        .value_kind:     global_buffer
      - .offset:         32
        .size:           8
        .value_kind:     by_value
      - .actual_access:  read_only
        .address_space:  global
        .offset:         40
        .size:           8
        .value_kind:     global_buffer
      - .actual_access:  read_only
        .address_space:  global
        .offset:         48
        .size:           8
        .value_kind:     global_buffer
      - .offset:         56
        .size:           4
        .value_kind:     by_value
      - .actual_access:  read_only
        .address_space:  global
        .offset:         64
        .size:           8
        .value_kind:     global_buffer
      - .actual_access:  read_only
        .address_space:  global
        .offset:         72
        .size:           8
        .value_kind:     global_buffer
      - .address_space:  global
        .offset:         80
        .size:           8
        .value_kind:     global_buffer
    .group_segment_fixed_size: 0
    .kernarg_segment_align: 8
    .kernarg_segment_size: 88
    .language:       OpenCL C
    .language_version:
      - 2
      - 0
    .max_flat_workgroup_size: 256
    .name:           fft_rtc_fwd_len4096_factors_16_16_16_wgs_256_tpt_256_halfLds_sp_ip_CI_unitstride_sbrr_R2C_dirReg
    .private_segment_fixed_size: 0
    .sgpr_count:     28
    .sgpr_spill_count: 0
    .symbol:         fft_rtc_fwd_len4096_factors_16_16_16_wgs_256_tpt_256_halfLds_sp_ip_CI_unitstride_sbrr_R2C_dirReg.kd
    .uniform_work_group_size: 1
    .uses_dynamic_stack: false
    .vgpr_count:     88
    .vgpr_spill_count: 0
    .wavefront_size: 64
amdhsa.target:   amdgcn-amd-amdhsa--gfx950
amdhsa.version:
  - 1
  - 2
...

	.end_amdgpu_metadata
